;; amdgpu-corpus repo=ROCm/rocFFT kind=compiled arch=gfx950 opt=O3
	.text
	.amdgcn_target "amdgcn-amd-amdhsa--gfx950"
	.amdhsa_code_object_version 6
	.protected	bluestein_single_back_len1800_dim1_sp_op_CI_CI ; -- Begin function bluestein_single_back_len1800_dim1_sp_op_CI_CI
	.globl	bluestein_single_back_len1800_dim1_sp_op_CI_CI
	.p2align	8
	.type	bluestein_single_back_len1800_dim1_sp_op_CI_CI,@function
bluestein_single_back_len1800_dim1_sp_op_CI_CI: ; @bluestein_single_back_len1800_dim1_sp_op_CI_CI
; %bb.0:
	s_load_dwordx4 s[8:11], s[0:1], 0x28
	v_mul_u32_u24_e32 v1, 0x16d, v0
	v_mov_b32_e32 v67, 0
	v_add_u32_sdwa v74, s2, v1 dst_sel:DWORD dst_unused:UNUSED_PAD src0_sel:DWORD src1_sel:WORD_1
	v_mov_b32_e32 v75, v67
	s_waitcnt lgkmcnt(0)
	v_cmp_gt_u64_e32 vcc, s[8:9], v[74:75]
	s_and_saveexec_b64 s[2:3], vcc
	s_cbranch_execz .LBB0_18
; %bb.1:
	s_load_dwordx4 s[4:7], s[0:1], 0x18
	s_load_dwordx4 s[12:15], s[0:1], 0x0
	v_mov_b32_e32 v2, s10
	v_mov_b32_e32 v3, s11
	s_movk_i32 s2, 0xb4
	s_waitcnt lgkmcnt(0)
	s_load_dwordx4 s[8:11], s[4:5], 0x0
	v_mul_lo_u16_sdwa v1, v1, s2 dst_sel:DWORD dst_unused:UNUSED_PAD src0_sel:WORD_1 src1_sel:DWORD
	v_sub_u16_e32 v66, v0, v1
	v_mov_b32_e32 v24, 0x5a0
	v_lshlrev_b32_e32 v64, 3, v66
	s_waitcnt lgkmcnt(0)
	v_mad_u64_u32 v[0:1], s[2:3], s10, v74, 0
	v_mov_b32_e32 v4, v1
	v_mad_u64_u32 v[4:5], s[2:3], s11, v74, v[4:5]
	v_mov_b32_e32 v1, v4
	v_mad_u64_u32 v[4:5], s[2:3], s8, v66, 0
	v_mov_b32_e32 v6, v5
	v_mad_u64_u32 v[6:7], s[2:3], s9, v66, v[6:7]
	v_mov_b32_e32 v5, v6
	v_lshl_add_u64 v[0:1], v[0:1], 3, v[2:3]
	v_lshl_add_u64 v[0:1], v[4:5], 3, v[0:1]
	global_load_dwordx2 v[2:3], v[0:1], off
	v_mad_u64_u32 v[0:1], s[2:3], s8, v24, v[0:1]
	s_mul_i32 s4, s9, 0x5a0
	v_add_u32_e32 v1, s4, v1
	v_mad_u64_u32 v[6:7], s[2:3], s8, v24, v[0:1]
	v_add_u32_e32 v7, s4, v7
	v_mov_b32_e32 v65, v67
	v_mad_u64_u32 v[8:9], s[2:3], s8, v24, v[6:7]
	v_lshl_add_u64 v[4:5], s[12:13], 0, v[64:65]
	v_add_u32_e32 v9, s4, v9
	s_movk_i32 s2, 0x1000
	v_add_co_u32_e32 v10, vcc, s2, v4
	v_mad_u64_u32 v[12:13], s[2:3], s8, v24, v[8:9]
	v_add_u32_e32 v13, s4, v13
	global_load_dwordx2 v[88:89], v64, s[12:13]
	global_load_dwordx2 v[86:87], v64, s[12:13] offset:1440
	global_load_dwordx2 v[80:81], v64, s[12:13] offset:2880
	v_addc_co_u32_e32 v11, vcc, 0, v5, vcc
	global_load_dwordx2 v[14:15], v[0:1], off
	global_load_dwordx2 v[16:17], v[6:7], off
	;; [unrolled: 1-line block ×4, first 2 shown]
	global_load_dwordx2 v[84:85], v[10:11], off offset:224
	global_load_dwordx2 v[76:77], v[10:11], off offset:1664
	v_mad_u64_u32 v[0:1], s[2:3], s8, v24, v[12:13]
	v_add_u32_e32 v1, s4, v1
	global_load_dwordx2 v[6:7], v[0:1], off
	v_mad_u64_u32 v[0:1], s[2:3], s8, v24, v[0:1]
	v_add_u32_e32 v1, s4, v1
	s_movk_i32 s2, 0x2000
	global_load_dwordx2 v[8:9], v[0:1], off
	v_add_co_u32_e32 v12, vcc, s2, v4
	v_mad_u64_u32 v[0:1], s[2:3], s8, v24, v[0:1]
	v_add_u32_e32 v1, s4, v1
	v_addc_co_u32_e32 v13, vcc, 0, v5, vcc
	global_load_dwordx2 v[82:83], v[10:11], off offset:3104
	global_load_dwordx2 v[72:73], v[12:13], off offset:448
	s_mov_b32 s16, 0xbf737871
	global_load_dwordx2 v[10:11], v[0:1], off
	v_mad_u64_u32 v[0:1], s[2:3], s8, v24, v[0:1]
	v_add_u32_e32 v1, s4, v1
	global_load_dwordx2 v[22:23], v[0:1], off
	global_load_dwordx2 v[78:79], v[12:13], off offset:1888
	global_load_dwordx2 v[68:69], v[12:13], off offset:3328
	v_mad_u64_u32 v[0:1], s[2:3], s8, v24, v[0:1]
	s_movk_i32 s2, 0x3000
	s_nop 0
	v_add_co_u32_e32 v4, vcc, s2, v4
	v_add_u32_e32 v1, s4, v1
	s_nop 0
	v_addc_co_u32_e32 v5, vcc, 0, v5, vcc
	global_load_dwordx2 v[70:71], v[4:5], off offset:672
	global_load_dwordx2 v[12:13], v[0:1], off
	v_add_u32_e32 v4, 0x1600, v64
	s_load_dwordx4 s[8:11], s[6:7], 0x0
	s_mov_b32 s4, 0x3f737871
	s_mov_b32 s2, 0x3f167918
	;; [unrolled: 1-line block ×4, first 2 shown]
	s_waitcnt vmcnt(18)
	v_mul_f32_e32 v0, v3, v89
	v_mul_f32_e32 v1, v2, v89
	v_fmac_f32_e32 v0, v2, v88
	v_fma_f32 v1, v3, v88, -v1
	s_waitcnt vmcnt(15)
	v_mul_f32_e32 v2, v15, v87
	v_mul_f32_e32 v3, v14, v87
	v_fmac_f32_e32 v2, v14, v86
	v_fma_f32 v3, v15, v86, -v3
	ds_write2_b64 v64, v[0:1], v[2:3] offset1:180
	s_waitcnt vmcnt(14)
	v_mul_f32_e32 v0, v17, v81
	v_mul_f32_e32 v1, v16, v81
	s_waitcnt vmcnt(11)
	v_mul_f32_e32 v2, v19, v85
	v_mul_f32_e32 v3, v18, v85
	v_fmac_f32_e32 v0, v16, v80
	v_fma_f32 v1, v17, v80, -v1
	v_fmac_f32_e32 v2, v18, v84
	v_fma_f32 v3, v19, v84, -v3
	v_add_u32_e32 v14, 0xa00, v64
	ds_write2_b64 v14, v[0:1], v[2:3] offset0:40 offset1:220
	s_waitcnt vmcnt(10)
	v_mul_f32_e32 v0, v21, v77
	v_mul_f32_e32 v1, v20, v77
	s_waitcnt vmcnt(7)
	v_mul_f32_e32 v2, v7, v83
	v_mul_f32_e32 v3, v6, v83
	v_fmac_f32_e32 v0, v20, v76
	v_fma_f32 v1, v21, v76, -v1
	v_fmac_f32_e32 v2, v6, v82
	v_fma_f32 v3, v7, v82, -v3
	ds_write2_b64 v4, v[0:1], v[2:3] offset0:16 offset1:196
	s_waitcnt vmcnt(6)
	v_mul_f32_e32 v0, v9, v73
	v_mul_f32_e32 v1, v8, v73
	s_waitcnt vmcnt(3)
	v_mul_f32_e32 v2, v11, v79
	v_mul_f32_e32 v3, v10, v79
	v_fmac_f32_e32 v0, v8, v72
	v_fma_f32 v1, v9, v72, -v1
	v_fmac_f32_e32 v2, v10, v78
	v_fma_f32 v3, v11, v78, -v3
	v_add_u32_e32 v8, 0x2000, v64
	ds_write2_b64 v8, v[0:1], v[2:3] offset0:56 offset1:236
	s_waitcnt vmcnt(2)
	v_mul_f32_e32 v0, v23, v69
	v_mul_f32_e32 v1, v22, v69
	s_waitcnt vmcnt(0)
	v_mul_f32_e32 v2, v13, v71
	v_mul_f32_e32 v3, v12, v71
	v_fmac_f32_e32 v0, v22, v68
	v_fma_f32 v1, v23, v68, -v1
	v_fmac_f32_e32 v2, v12, v70
	v_fma_f32 v3, v13, v70, -v3
	v_add_u32_e32 v16, 0x2c00, v64
	ds_write2_b64 v16, v[0:1], v[2:3] offset0:32 offset1:212
	s_waitcnt lgkmcnt(0)
	s_barrier
	ds_read2_b64 v[0:3], v64 offset1:180
	ds_read2_b64 v[4:7], v4 offset0:16 offset1:196
	ds_read2_b64 v[8:11], v8 offset0:56 offset1:236
	;; [unrolled: 1-line block ×4, first 2 shown]
	s_waitcnt lgkmcnt(0)
	s_barrier
	v_pk_add_f32 v[16:17], v[4:5], v[8:9]
	v_pk_add_f32 v[22:23], v[4:5], v[8:9] neg_lo:[0,1] neg_hi:[0,1]
	v_pk_add_f32 v[18:19], v[12:13], v[26:27] neg_lo:[0,1] neg_hi:[0,1]
	v_pk_fma_f32 v[16:17], v[16:17], 0.5, v[0:1] op_sel_hi:[1,0,1] neg_lo:[1,0,0] neg_hi:[1,0,0]
	v_pk_mul_f32 v[20:21], v[18:19], s[4:5] op_sel_hi:[1,0]
	v_pk_add_f32 v[30:31], v[12:13], v[4:5] neg_lo:[0,1] neg_hi:[0,1]
	v_pk_add_f32 v[32:33], v[26:27], v[8:9] neg_lo:[0,1] neg_hi:[0,1]
	v_pk_mul_f32 v[24:25], v[22:23], s[2:3] op_sel_hi:[1,0]
	v_pk_add_f32 v[30:31], v[30:31], v[32:33]
	v_pk_add_f32 v[32:33], v[16:17], v[20:21] op_sel:[0,1] op_sel_hi:[1,0]
	v_pk_add_f32 v[16:17], v[16:17], v[20:21] op_sel:[0,1] op_sel_hi:[1,0] neg_lo:[0,1] neg_hi:[0,1]
	v_pk_add_f32 v[20:21], v[32:33], v[24:25] op_sel:[0,1] op_sel_hi:[1,0]
	v_pk_add_f32 v[16:17], v[16:17], v[24:25] op_sel:[0,1] op_sel_hi:[1,0] neg_lo:[0,1] neg_hi:[0,1]
	v_pk_add_f32 v[24:25], v[6:7], v[14:15] neg_lo:[0,1] neg_hi:[0,1]
	v_pk_add_f32 v[32:33], v[10:11], v[28:29] neg_lo:[0,1] neg_hi:[0,1]
	;; [unrolled: 1-line block ×3, first 2 shown]
	v_pk_add_f32 v[24:25], v[24:25], v[32:33]
	v_pk_add_f32 v[32:33], v[14:15], v[28:29]
	v_pk_mul_f32 v[36:37], v[34:35], s[4:5] op_sel_hi:[1,0]
	v_pk_fma_f32 v[32:33], v[32:33], 0.5, v[2:3] op_sel_hi:[1,0,1] neg_lo:[1,0,0] neg_hi:[1,0,0]
	v_pk_mul_f32 v[22:23], v[22:23], s[4:5] op_sel_hi:[1,0]
	v_pk_add_f32 v[38:39], v[32:33], v[36:37] op_sel:[0,1] op_sel_hi:[1,0] neg_lo:[0,1] neg_hi:[0,1]
	v_pk_add_f32 v[32:33], v[32:33], v[36:37] op_sel:[0,1] op_sel_hi:[1,0]
	v_pk_add_f32 v[36:37], v[14:15], v[28:29] neg_lo:[0,1] neg_hi:[0,1]
	v_pk_mul_f32 v[18:19], v[18:19], s[2:3] op_sel_hi:[1,0]
	v_pk_mul_f32 v[40:41], v[36:37], s[2:3] op_sel_hi:[1,0]
	s_nop 0
	v_pk_add_f32 v[32:33], v[32:33], v[40:41] op_sel:[0,1] op_sel_hi:[1,0] neg_lo:[0,1] neg_hi:[0,1]
	v_pk_add_f32 v[38:39], v[38:39], v[40:41] op_sel:[0,1] op_sel_hi:[1,0]
	v_mov_b32_e32 v41, v33
	v_mov_b32_e32 v40, v38
	v_pk_fma_f32 v[40:41], v[24:25], s[6:7], v[40:41] op_sel_hi:[1,0,1]
	v_mov_b32_e32 v33, v39
	v_pk_mul_f32 v[42:43], v[40:41], s[4:5] op_sel_hi:[1,0]
	v_pk_fma_f32 v[24:25], v[24:25], s[6:7], v[32:33] op_sel_hi:[1,0,1]
	v_pk_fma_f32 v[44:45], v[40:41], s[6:7], v[42:43] op_sel:[0,0,1] op_sel_hi:[1,0,0]
	v_pk_fma_f32 v[40:41], v[40:41], s[6:7], v[42:43] op_sel:[0,0,1] op_sel_hi:[1,0,0] neg_lo:[0,0,1] neg_hi:[0,0,1]
	v_pk_add_f32 v[42:43], v[8:9], v[26:27] neg_lo:[0,1] neg_hi:[0,1]
	v_mov_b32_e32 v45, v41
	v_pk_add_f32 v[40:41], v[4:5], v[12:13] neg_lo:[0,1] neg_hi:[0,1]
	v_pk_mul_f32 v[32:33], v[24:25], s[6:7] op_sel_hi:[1,0]
	v_pk_add_f32 v[40:41], v[40:41], v[42:43]
	v_pk_add_f32 v[42:43], v[12:13], v[26:27]
	v_pk_fma_f32 v[32:33], v[24:25], s[16:17], v[32:33] op_sel:[0,0,1] op_sel_hi:[1,1,0] neg_lo:[0,0,1] neg_hi:[0,0,1]
	v_pk_fma_f32 v[42:43], v[42:43], 0.5, v[0:1] op_sel_hi:[1,0,1] neg_lo:[1,0,0] neg_hi:[1,0,0]
	v_pk_add_f32 v[0:1], v[0:1], v[12:13]
	v_pk_add_f32 v[46:47], v[42:43], v[22:23] op_sel:[0,1] op_sel_hi:[1,0] neg_lo:[0,1] neg_hi:[0,1]
	v_pk_add_f32 v[22:23], v[42:43], v[22:23] op_sel:[0,1] op_sel_hi:[1,0]
	v_pk_add_f32 v[12:13], v[14:15], v[6:7] neg_lo:[0,1] neg_hi:[0,1]
	v_pk_add_f32 v[22:23], v[22:23], v[18:19] op_sel:[0,1] op_sel_hi:[1,0] neg_lo:[0,1] neg_hi:[0,1]
	v_pk_add_f32 v[18:19], v[46:47], v[18:19] op_sel:[0,1] op_sel_hi:[1,0]
	v_mov_b32_e32 v25, v23
	v_mov_b32_e32 v24, v18
	;; [unrolled: 1-line block ×6, first 2 shown]
	v_pk_fma_f32 v[38:39], v[40:41], s[6:7], v[24:25] op_sel_hi:[1,0,1]
	v_pk_fma_f32 v[22:23], v[40:41], s[6:7], v[22:23] op_sel_hi:[1,0,1]
	;; [unrolled: 1-line block ×4, first 2 shown]
	v_pk_add_f32 v[16:17], v[6:7], v[10:11]
	v_pk_add_f32 v[0:1], v[0:1], v[4:5]
	v_pk_fma_f32 v[16:17], v[16:17], 0.5, v[2:3] op_sel_hi:[1,0,1] neg_lo:[1,0,0] neg_hi:[1,0,0]
	v_pk_add_f32 v[2:3], v[2:3], v[14:15]
	v_pk_add_f32 v[14:15], v[28:29], v[10:11] neg_lo:[0,1] neg_hi:[0,1]
	v_pk_add_f32 v[2:3], v[2:3], v[6:7]
	v_pk_add_f32 v[12:13], v[12:13], v[14:15]
	v_pk_mul_f32 v[14:15], v[36:37], s[4:5] op_sel_hi:[1,0]
	s_mov_b32 s4, 0xbf167918
	v_pk_add_f32 v[18:19], v[16:17], v[14:15] op_sel:[0,1] op_sel_hi:[1,0]
	v_pk_add_f32 v[14:15], v[16:17], v[14:15] op_sel:[0,1] op_sel_hi:[1,0] neg_lo:[0,1] neg_hi:[0,1]
	v_pk_mul_f32 v[16:17], v[34:35], s[2:3] op_sel_hi:[1,0]
	s_mov_b32 s5, s2
	v_pk_add_f32 v[18:19], v[16:17], v[18:19] op_sel:[1,0] op_sel_hi:[0,1]
	v_pk_add_f32 v[14:15], v[14:15], v[16:17] op_sel:[0,1] op_sel_hi:[1,0] neg_lo:[0,1] neg_hi:[0,1]
	v_pk_add_f32 v[0:1], v[0:1], v[8:9]
	v_pk_fma_f32 v[16:17], v[12:13], s[6:7], v[14:15] op_sel_hi:[1,0,1]
	v_mov_b32_e32 v15, v19
	v_pk_fma_f32 v[18:19], v[12:13], s[6:7], v[18:19] op_sel_hi:[1,0,1]
	v_pk_fma_f32 v[12:13], v[12:13], s[6:7], v[14:15] op_sel_hi:[1,0,1]
	s_mov_b32 s6, 0x3f4f1bbd
	v_pk_mul_f32 v[14:15], v[12:13], s[6:7] op_sel_hi:[1,0]
	s_mov_b32 s7, s2
	v_pk_fma_f32 v[12:13], v[12:13], s[4:5], v[14:15] op_sel:[0,0,1] op_sel_hi:[1,1,0] neg_lo:[0,0,1] neg_hi:[0,0,1]
	v_pk_mul_f32 v[14:15], v[18:19], s[6:7] op_sel_hi:[0,1]
	s_mov_b32 s3, s6
	v_pk_fma_f32 v[34:35], v[16:17], s[2:3], v[14:15] op_sel:[1,0,0]
	v_pk_fma_f32 v[14:15], v[16:17], s[2:3], v[14:15] op_sel:[1,0,0] neg_lo:[0,0,1] neg_hi:[0,0,1]
	v_pk_add_f32 v[2:3], v[2:3], v[10:11]
	v_mov_b32_e32 v35, v15
	v_pk_add_f32 v[4:5], v[0:1], v[26:27]
	v_pk_add_f32 v[6:7], v[2:3], v[28:29]
	v_mul_lo_u16_e32 v0, 10, v66
	v_lshlrev_b32_e32 v75, 3, v0
	v_pk_add_f32 v[2:3], v[40:41], v[34:35]
	v_pk_add_f32 v[0:1], v[4:5], v[6:7]
	v_pk_add_f32 v[24:25], v[30:31], v[12:13] op_sel:[1,0] op_sel_hi:[0,1] neg_lo:[0,1] neg_hi:[0,1]
	ds_write_b128 v75, v[0:3]
	v_pk_add_f32 v[0:1], v[38:39], v[44:45]
	v_pk_add_f32 v[2:3], v[22:23], v[32:33] op_sel:[0,1] op_sel_hi:[1,0]
	v_pk_add_f32 v[8:9], v[30:31], v[12:13] op_sel:[1,0] op_sel_hi:[0,1]
	v_pk_add_f32 v[20:21], v[22:23], v[32:33] op_sel:[0,1] op_sel_hi:[1,0] neg_lo:[0,1] neg_hi:[0,1]
	ds_write_b128 v75, v[0:3] offset:16
	v_pk_add_f32 v[2:3], v[4:5], v[6:7] neg_lo:[0,1] neg_hi:[0,1]
	v_mov_b32_e32 v0, v9
	v_mov_b32_e32 v1, v8
	;; [unrolled: 1-line block ×4, first 2 shown]
	v_pk_add_f32 v[18:19], v[38:39], v[44:45] neg_lo:[0,1] neg_hi:[0,1]
	v_pk_add_f32 v[16:17], v[40:41], v[34:35] neg_lo:[0,1] neg_hi:[0,1]
	ds_write_b128 v75, v[0:3] offset:32
	ds_write_b128 v75, v[16:19] offset:48
	;; [unrolled: 1-line block ×3, first 2 shown]
	s_waitcnt lgkmcnt(0)
	s_barrier
	ds_read_b64 v[26:27], v64
	ds_read_b64 v[38:39], v64 offset:2400
	ds_read_b64 v[30:31], v64 offset:4800
	;; [unrolled: 1-line block ×5, first 2 shown]
	s_load_dwordx2 s[16:17], s[0:1], 0x38
	s_movk_i32 s0, 0x77
	v_cmp_lt_u16_e64 s[2:3], s0, v66
	s_movk_i32 s0, 0x78
	v_cmp_gt_u16_e64 s[0:1], s0, v66
                                        ; implicit-def: $vgpr36
                                        ; implicit-def: $vgpr42
                                        ; implicit-def: $vgpr22
	s_and_saveexec_b64 s[4:5], s[0:1]
	s_cbranch_execz .LBB0_3
; %bb.2:
	ds_read_b64 v[0:1], v64 offset:8640
	ds_read_b64 v[16:17], v64 offset:1440
	;; [unrolled: 1-line block ×6, first 2 shown]
	s_waitcnt lgkmcnt(0)
	v_mov_b32_e32 v24, v1
	v_mov_b32_e32 v25, v0
	;; [unrolled: 1-line block ×3, first 2 shown]
.LBB0_3:
	s_or_b64 exec, exec, s[4:5]
	s_mov_b64 s[4:5], 0xb4
	v_lshl_add_u64 v[32:33], v[66:67], 0, s[4:5]
	s_movk_i32 s4, 0xcd
	v_mul_lo_u16_sdwa v0, v66, s4 dst_sel:DWORD dst_unused:UNUSED_PAD src0_sel:BYTE_0 src1_sel:DWORD
	v_lshrrev_b16_e32 v33, 11, v0
	v_mul_lo_u16_e32 v0, 10, v33
	v_sub_u16_e32 v0, v66, v0
	v_and_b32_e32 v37, 0xff, v0
	v_mad_u64_u32 v[44:45], s[4:5], v37, 40, s[14:15]
	s_mov_b32 s4, 0xcccd
	s_nop 0
	v_mul_u32_u24_sdwa v0, v32, s4 dst_sel:DWORD dst_unused:UNUSED_PAD src0_sel:WORD_0 src1_sel:DWORD
	v_lshrrev_b32_e32 v99, 19, v0
	v_mul_lo_u16_e32 v0, 10, v99
	v_sub_u16_e32 v101, v32, v0
	v_mul_lo_u16_e32 v0, 40, v101
	v_mov_b32_e32 v1, 0
	global_load_dwordx4 v[8:11], v[44:45], off offset:16
	global_load_dwordx4 v[12:15], v[44:45], off
	v_lshl_add_u64 v[46:47], s[14:15], 0, v[0:1]
	global_load_dwordx4 v[4:7], v[46:47], off
	global_load_dwordx2 v[92:93], v[44:45], off offset:32
	global_load_dwordx4 v[0:3], v[46:47], off offset:16
	global_load_dwordx2 v[90:91], v[46:47], off offset:32
	v_mul_u32_u24_e32 v33, 60, v33
	v_add_lshl_u32 v65, v33, v37, 3
	v_mov_b32_e32 v46, v25
	v_mov_b32_e32 v44, v19
	s_mov_b32 s4, 0x3f5db3d7
	s_mov_b32 s6, 0.5
	s_waitcnt lgkmcnt(0)
	s_barrier
	s_mov_b32 s7, s4
	v_mad_legacy_u16 v133, v99, 60, v101
	s_waitcnt vmcnt(5)
	v_pk_mul_f32 v[50:51], v[40:41], v[8:9] op_sel:[0,1]
	s_waitcnt vmcnt(4)
	v_pk_mul_f32 v[48:49], v[38:39], v[12:13] op_sel:[0,1]
	v_mov_b32_e32 v52, v15
	v_mov_b32_e32 v54, v11
	s_waitcnt vmcnt(3)
	v_pk_mul_f32 v[56:57], v[20:21], v[6:7] op_sel:[1,0]
	s_waitcnt vmcnt(2)
	v_pk_mul_f32 v[58:59], v[34:35], v[92:93] op_sel:[0,1]
	s_waitcnt vmcnt(1)
	v_pk_mul_f32 v[42:43], v[42:43], v[2:3] op_sel_hi:[0,1]
	v_pk_fma_f32 v[62:63], v[40:41], v[8:9], v[50:51] op_sel:[0,0,1] op_sel_hi:[1,1,0] neg_lo:[0,0,1] neg_hi:[0,0,1]
	v_pk_fma_f32 v[40:41], v[40:41], v[8:9], v[50:51] op_sel:[0,0,1] op_sel_hi:[1,0,0]
	v_pk_fma_f32 v[60:61], v[38:39], v[12:13], v[48:49] op_sel:[0,0,1] op_sel_hi:[1,1,0] neg_lo:[0,0,1] neg_hi:[0,0,1]
	v_pk_fma_f32 v[48:49], v[38:39], v[12:13], v[48:49] op_sel:[0,0,1] op_sel_hi:[1,0,0]
	v_pk_mul_f32 v[50:51], v[30:31], v[52:53] op_sel_hi:[1,0]
	v_pk_mul_f32 v[52:53], v[28:29], v[54:55] op_sel_hi:[1,0]
	v_pk_mul_f32 v[54:55], v[18:19], v[4:5]
	v_mov_b32_e32 v40, v1
	v_pk_fma_f32 v[38:39], v[20:21], v[6:7], v[56:57] op_sel:[0,0,1] op_sel_hi:[1,1,0] neg_lo:[0,0,1] neg_hi:[0,0,1]
	v_pk_fma_f32 v[56:57], v[20:21], v[6:7], v[56:57] op_sel:[0,0,1] op_sel_hi:[0,1,0]
	v_pk_fma_f32 v[96:97], v[34:35], v[92:93], v[58:59] op_sel:[0,0,1] op_sel_hi:[1,1,0] neg_lo:[0,0,1] neg_hi:[0,0,1]
	v_pk_fma_f32 v[34:35], v[34:35], v[92:93], v[58:59] op_sel:[0,0,1] op_sel_hi:[1,0,0]
	;; [unrolled: 2-line block ×3, first 2 shown]
	v_pk_mul_f32 v[94:95], v[24:25], v[0:1]
	v_mov_b32_e32 v48, v5
	v_pk_fma_f32 v[42:43], v[30:31], v[14:15], v[50:51] op_sel:[0,0,1] op_sel_hi:[1,1,0] neg_lo:[0,0,1] neg_hi:[0,0,1]
	v_pk_fma_f32 v[30:31], v[30:31], v[14:15], v[50:51] op_sel:[0,0,1] op_sel_hi:[1,0,0]
	v_mov_b32_e32 v63, v41
	v_pk_fma_f32 v[50:51], v[28:29], v[10:11], v[52:53] op_sel:[0,0,1] op_sel_hi:[1,1,0] neg_lo:[0,0,1] neg_hi:[0,0,1]
	v_pk_fma_f32 v[52:53], v[28:29], v[10:11], v[52:53] op_sel:[0,0,1] op_sel_hi:[1,0,0]
	v_pk_mul_f32 v[28:29], v[24:25], v[40:41]
	v_mov_b32_e32 v34, v55
	v_mov_b32_e32 v97, v35
	;; [unrolled: 1-line block ×6, first 2 shown]
	v_pk_mul_f32 v[40:41], v[18:19], v[48:49]
	v_pk_fma_f32 v[28:29], v[46:47], v[0:1], v[28:29] op_sel_hi:[0,1,1] neg_lo:[0,0,1] neg_hi:[0,0,1]
	v_pk_fma_f32 v[18:19], v[18:19], v[4:5], v[34:35] neg_lo:[0,0,1] neg_hi:[0,0,1]
	v_mov_b32_e32 v43, v31
	v_pk_add_f32 v[34:35], v[62:63], v[96:97]
	v_pk_add_f32 v[46:47], v[38:39], v[20:21] neg_lo:[0,1] neg_hi:[0,1]
	v_pk_fma_f32 v[24:25], v[24:25], v[0:1], v[30:31]
	v_mov_b32_e32 v51, v53
	v_pk_add_f32 v[30:31], v[60:61], v[62:63]
	v_pk_add_f32 v[36:37], v[62:63], v[96:97] neg_lo:[0,1] neg_hi:[0,1]
	v_pk_add_f32 v[48:49], v[26:27], v[42:43]
	v_pk_fma_f32 v[34:35], v[34:35], 0.5, v[60:61] op_sel_hi:[1,0,1] neg_lo:[1,0,0] neg_hi:[1,0,0]
	v_pk_mul_f32 v[46:47], v[46:47], s[4:5] op_sel_hi:[1,0]
	s_mov_b32 s5, s6
	v_pk_add_f32 v[52:53], v[30:31], v[96:97]
	v_pk_add_f32 v[30:31], v[42:43], v[50:51]
	v_pk_add_f32 v[42:43], v[42:43], v[50:51] neg_lo:[0,1] neg_hi:[0,1]
	v_pk_add_f32 v[48:49], v[48:49], v[50:51]
	v_pk_fma_f32 v[50:51], v[36:37], s[4:5], v[34:35] op_sel:[0,0,1] op_sel_hi:[1,0,0]
	v_pk_fma_f32 v[36:37], v[36:37], s[4:5], v[34:35] op_sel:[0,0,1] op_sel_hi:[1,0,0] neg_lo:[1,0,0] neg_hi:[1,0,0]
	v_pk_fma_f32 v[26:27], v[30:31], 0.5, v[26:27] op_sel_hi:[1,0,1] neg_lo:[1,0,0] neg_hi:[1,0,0]
	v_mul_f32_e32 v58, 0x3f5db3d7, v36
	v_pk_mul_f32 v[42:43], v[42:43], s[4:5] op_sel_hi:[1,0]
	v_fmac_f32_e32 v58, 0.5, v51
	v_mul_f32_e32 v51, 0xbf5db3d7, v51
	v_pk_add_f32 v[54:55], v[42:43], v[26:27] op_sel:[1,0] op_sel_hi:[0,1]
	v_pk_add_f32 v[56:57], v[26:27], v[42:43] op_sel:[0,1] op_sel_hi:[1,0] neg_lo:[0,1] neg_hi:[0,1]
	v_fmac_f32_e32 v51, 0.5, v36
	v_pk_add_f32 v[30:31], v[48:49], v[52:53]
	v_add_f32_e32 v26, v54, v58
	v_add_f32_e32 v27, v57, v51
	ds_write2_b64 v65, v[30:31], v[26:27] offset1:10
	s_waitcnt vmcnt(0)
	v_pk_mul_f32 v[26:27], v[22:23], v[90:91]
	v_mov_b32_e32 v30, v91
	v_mov_b32_e32 v26, v27
	v_pk_fma_f32 v[26:27], v[22:23], v[90:91], v[26:27] neg_lo:[0,0,1] neg_hi:[0,0,1]
	v_pk_mul_f32 v[30:31], v[22:23], v[30:31]
	v_mov_b32_e32 v22, v23
	v_pk_mul_f32 v[44:45], v[44:45], v[4:5]
	v_pk_fma_f32 v[22:23], v[22:23], v[90:91], v[30:31] op_sel_hi:[0,1,1]
	v_add_f32_e32 v30, v28, v26
	v_mov_b32_e32 v45, v24
	v_mov_b32_e32 v41, v22
	v_fma_f32 v59, -0.5, v30, v18
	v_sub_f32_e32 v33, v24, v22
	v_pk_add_f32 v[34:35], v[44:45], v[40:41]
	v_fmamk_f32 v30, v33, 0x3f5db3d7, v59
	v_fma_f32 v60, -0.5, v35, v34
	v_sub_f32_e32 v61, v28, v26
	v_pk_mul_f32 v[40:41], v[30:31], s[6:7] op_sel_hi:[0,1]
	v_fmamk_f32 v36, v61, 0xbf5db3d7, v60
	v_pk_fma_f32 v[30:31], v[36:37], s[4:5], v[40:41]
	v_pk_fma_f32 v[40:41], v[36:37], s[4:5], v[40:41] op_sel_hi:[0,1,1] neg_lo:[0,0,1] neg_hi:[0,0,1]
	v_mov_b32_e32 v36, v50
	s_mov_b32 s5, 0xbf5db3d7
	v_pk_mul_f32 v[42:43], v[36:37], 0.5 op_sel_hi:[1,0]
	v_fmac_f32_e32 v59, 0xbf5db3d7, v33
	v_pk_fma_f32 v[44:45], v[36:37], s[4:5], v[42:43] op_sel:[0,0,1] op_sel_hi:[1,1,0] neg_lo:[0,0,1] neg_hi:[0,0,1]
	v_pk_add_f32 v[36:37], v[48:49], v[52:53] neg_lo:[0,1] neg_hi:[0,1]
	v_mov_b32_e32 v48, v56
	v_mov_b32_e32 v49, v55
	v_pk_add_f32 v[42:43], v[48:49], v[44:45]
	ds_write2_b64 v65, v[42:43], v[36:37] offset0:20 offset1:30
	v_pk_add_f32 v[36:37], v[38:39], v[20:21]
	v_fmac_f32_e32 v60, 0x3f5db3d7, v61
	v_pk_fma_f32 v[42:43], v[36:37], 0.5, v[16:17] op_sel_hi:[1,0,1] neg_lo:[1,0,0] neg_hi:[1,0,0]
	v_mul_f32_e32 v33, -0.5, v59
	v_pk_add_f32 v[36:37], v[42:43], v[46:47] op_sel:[0,1] op_sel_hi:[1,0] neg_lo:[0,1] neg_hi:[0,1]
	v_pk_add_f32 v[42:43], v[42:43], v[46:47] op_sel:[0,1] op_sel_hi:[1,0]
	v_mov_b32_e32 v31, v41
	v_mov_b32_e32 v41, v37
	v_mul_f32_e32 v37, -0.5, v60
	v_fmac_f32_e32 v33, 0x3f5db3d7, v60
	v_mov_b32_e32 v40, v42
	v_fmac_f32_e32 v37, 0xbf5db3d7, v59
	v_sub_f32_e32 v46, v54, v58
	v_sub_f32_e32 v98, v36, v33
	;; [unrolled: 1-line block ×3, first 2 shown]
	v_pk_add_f32 v[96:97], v[40:41], v[30:31] neg_lo:[0,1] neg_hi:[0,1]
	v_pk_add_f32 v[44:45], v[48:49], v[44:45] neg_lo:[0,1] neg_hi:[0,1]
	v_sub_f32_e32 v100, v43, v37
	ds_write2_b64 v65, v[46:47], v[44:45] offset0:40 offset1:50
	s_and_saveexec_b64 s[4:5], s[0:1]
	s_cbranch_execz .LBB0_5
; %bb.4:
	v_pk_add_f32 v[16:17], v[16:17], v[38:39]
	v_pk_add_f32 v[18:19], v[18:19], v[28:29]
	;; [unrolled: 1-line block ×6, first 2 shown]
	v_mov_b32_e32 v22, v17
	v_pk_add_f32 v[24:25], v[22:23], v[20:21] neg_lo:[0,1] neg_hi:[0,1]
	v_add_f32_e32 v23, v43, v37
	v_pk_add_f32 v[26:27], v[16:17], v[18:19] neg_lo:[0,1] neg_hi:[0,1]
	v_pk_add_f32 v[20:21], v[22:23], v[20:21]
	v_pk_add_f32 v[16:17], v[16:17], v[18:19]
	v_add_f32_e32 v22, v36, v33
	v_lshlrev_b32_e32 v21, 3, v133
	v_mov_b32_e32 v17, v20
	v_pk_add_f32 v[18:19], v[40:41], v[30:31]
	v_mov_b32_e32 v27, v24
	v_mov_b32_e32 v99, v100
	ds_write2_b64 v21, v[16:17], v[18:19] offset1:10
	ds_write2_b64 v21, v[22:23], v[26:27] offset0:20 offset1:30
	ds_write2_b64 v21, v[96:97], v[98:99] offset0:40 offset1:50
.LBB0_5:
	s_or_b64 exec, exec, s[4:5]
	s_movk_i32 s4, 0x89
	v_mul_lo_u16_sdwa v16, v66, s4 dst_sel:DWORD dst_unused:UNUSED_PAD src0_sel:BYTE_0 src1_sel:DWORD
	v_lshrrev_b16_e32 v33, 13, v16
	v_mul_lo_u16_e32 v16, 60, v33
	v_sub_u16_e32 v16, v66, v16
	v_and_b32_e32 v54, 0xff, v16
	s_movk_i32 s4, 0x48
	v_mov_b64_e32 v[16:17], s[14:15]
	v_mad_u64_u32 v[34:35], s[4:5], v54, s4, v[16:17]
	s_waitcnt lgkmcnt(0)
	s_barrier
	global_load_dwordx4 v[28:31], v[34:35], off offset:400
	global_load_dwordx4 v[24:27], v[34:35], off offset:416
	;; [unrolled: 1-line block ×4, first 2 shown]
	global_load_dwordx2 v[94:95], v[34:35], off offset:464
	v_add_u32_e32 v38, 0xa00, v64
	v_add_u32_e32 v42, 0x1600, v64
	v_add_u32_e32 v46, 0x2000, v64
	v_add_u32_e32 v50, 0x2c00, v64
	ds_read2_b64 v[34:37], v64 offset1:180
	ds_read2_b64 v[38:41], v38 offset0:40 offset1:220
	ds_read2_b64 v[42:45], v42 offset0:16 offset1:196
	;; [unrolled: 1-line block ×4, first 2 shown]
	v_mul_u32_u24_e32 v33, 0x258, v33
	v_add_lshl_u32 v132, v33, v54, 3
	s_mov_b32 s4, 0x3f737871
	s_mov_b32 s18, 0x3f167918
	;; [unrolled: 1-line block ×5, first 2 shown]
	s_waitcnt lgkmcnt(0)
	s_barrier
	v_add_u32_e32 v33, 0x400, v132
	v_add_u32_e32 v101, 0x1800, v64
	s_waitcnt vmcnt(4)
	v_mov_b32_e32 v54, v31
	s_waitcnt vmcnt(3)
	v_mov_b32_e32 v56, v27
	;; [unrolled: 2-line block ×3, first 2 shown]
	v_pk_mul_f32 v[62:63], v[36:37], v[28:29] op_sel:[0,1]
	v_pk_mul_f32 v[102:103], v[40:41], v[24:25] op_sel:[0,1]
	;; [unrolled: 1-line block ×3, first 2 shown]
	s_waitcnt vmcnt(1)
	v_pk_mul_f32 v[106:107], v[48:49], v[16:17] op_sel:[0,1]
	s_waitcnt vmcnt(0)
	v_pk_mul_f32 v[108:109], v[52:53], v[94:95] op_sel:[0,1]
	v_mov_b32_e32 v60, v19
	v_pk_mul_f32 v[54:55], v[38:39], v[54:55] op_sel_hi:[1,0]
	v_pk_mul_f32 v[56:57], v[42:43], v[56:57] op_sel_hi:[1,0]
	;; [unrolled: 1-line block ×3, first 2 shown]
	v_pk_fma_f32 v[110:111], v[36:37], v[28:29], v[62:63] op_sel:[0,0,1] op_sel_hi:[1,1,0] neg_lo:[0,0,1] neg_hi:[0,0,1]
	v_pk_fma_f32 v[36:37], v[36:37], v[28:29], v[62:63] op_sel:[0,0,1] op_sel_hi:[1,0,0]
	v_pk_fma_f32 v[62:63], v[40:41], v[24:25], v[102:103] op_sel:[0,0,1] op_sel_hi:[1,1,0] neg_lo:[0,0,1] neg_hi:[0,0,1]
	v_pk_fma_f32 v[40:41], v[40:41], v[24:25], v[102:103] op_sel:[0,0,1] op_sel_hi:[1,0,0]
	;; [unrolled: 2-line block ×5, first 2 shown]
	v_pk_mul_f32 v[60:61], v[50:51], v[60:61] op_sel_hi:[1,0]
	v_pk_fma_f32 v[108:109], v[38:39], v[30:31], v[54:55] op_sel:[0,0,1] op_sel_hi:[1,1,0] neg_lo:[0,0,1] neg_hi:[0,0,1]
	v_pk_fma_f32 v[38:39], v[38:39], v[30:31], v[54:55] op_sel:[0,0,1] op_sel_hi:[1,0,0]
	v_pk_fma_f32 v[54:55], v[42:43], v[26:27], v[56:57] op_sel:[0,0,1] op_sel_hi:[1,1,0] neg_lo:[0,0,1] neg_hi:[0,0,1]
	v_pk_fma_f32 v[42:43], v[42:43], v[26:27], v[56:57] op_sel:[0,0,1] op_sel_hi:[1,0,0]
	;; [unrolled: 2-line block ×3, first 2 shown]
	v_mov_b32_e32 v63, v41
	v_mov_b32_e32 v113, v45
	;; [unrolled: 1-line block ×4, first 2 shown]
	v_pk_fma_f32 v[58:59], v[50:51], v[18:19], v[60:61] op_sel:[0,0,1] op_sel_hi:[1,1,0] neg_lo:[0,0,1] neg_hi:[0,0,1]
	v_pk_fma_f32 v[50:51], v[50:51], v[18:19], v[60:61] op_sel:[0,0,1] op_sel_hi:[1,0,0]
	v_mov_b32_e32 v111, v37
	v_mov_b32_e32 v109, v39
	;; [unrolled: 1-line block ×4, first 2 shown]
	v_pk_add_f32 v[38:39], v[112:113], v[104:105]
	v_pk_add_f32 v[102:103], v[62:63], v[112:113] neg_lo:[0,1] neg_hi:[0,1]
	v_pk_add_f32 v[116:117], v[106:107], v[104:105] neg_lo:[0,1] neg_hi:[0,1]
	v_mov_b32_e32 v59, v51
	v_pk_add_f32 v[40:41], v[54:55], v[56:57]
	v_pk_fma_f32 v[38:39], v[38:39], 0.5, v[110:111] op_sel_hi:[1,0,1] neg_lo:[1,0,0] neg_hi:[1,0,0]
	v_pk_add_f32 v[60:61], v[62:63], v[106:107] neg_lo:[0,1] neg_hi:[0,1]
	v_pk_add_f32 v[102:103], v[102:103], v[116:117]
	v_pk_add_f32 v[42:43], v[108:109], v[58:59] neg_lo:[0,1] neg_hi:[0,1]
	v_pk_add_f32 v[46:47], v[108:109], v[54:55] neg_lo:[0,1] neg_hi:[0,1]
	v_pk_add_f32 v[48:49], v[58:59], v[56:57] neg_lo:[0,1] neg_hi:[0,1]
	v_pk_add_f32 v[50:51], v[34:35], v[108:109]
	v_pk_fma_f32 v[40:41], v[40:41], 0.5, v[34:35] op_sel_hi:[1,0,1] neg_lo:[1,0,0] neg_hi:[1,0,0]
	v_pk_add_f32 v[114:115], v[112:113], v[104:105] neg_lo:[0,1] neg_hi:[0,1]
	v_pk_mul_f32 v[116:117], v[102:103], s[6:7] op_sel_hi:[1,0]
	v_pk_fma_f32 v[102:103], v[60:61], s[4:5], v[38:39] op_sel:[0,0,1] op_sel_hi:[1,0,0]
	v_pk_fma_f32 v[38:39], v[60:61], s[4:5], v[38:39] op_sel:[0,0,1] op_sel_hi:[1,0,0] neg_lo:[1,0,0] neg_hi:[1,0,0]
	v_pk_add_f32 v[44:45], v[54:55], v[56:57] neg_lo:[0,1] neg_hi:[0,1]
	v_pk_add_f32 v[46:47], v[46:47], v[48:49]
	v_pk_add_f32 v[48:49], v[50:51], v[54:55]
	v_pk_fma_f32 v[50:51], v[42:43], s[4:5], v[40:41] op_sel:[1,0,0] op_sel_hi:[0,0,1] neg_lo:[1,0,0] neg_hi:[1,0,0]
	v_pk_fma_f32 v[40:41], v[42:43], s[4:5], v[40:41] op_sel:[1,0,0] op_sel_hi:[0,0,1]
	v_pk_fma_f32 v[38:39], v[114:115], s[18:19], v[38:39] op_sel_hi:[1,0,1] neg_lo:[1,0,0] neg_hi:[1,0,0]
	v_pk_fma_f32 v[118:119], v[114:115], s[18:19], v[102:103] op_sel_hi:[1,0,1]
	v_pk_fma_f32 v[40:41], v[44:45], s[18:19], v[40:41] op_sel:[1,0,0] op_sel_hi:[0,0,1]
	v_pk_fma_f32 v[50:51], v[44:45], s[18:19], v[50:51] op_sel:[1,0,0] op_sel_hi:[0,0,1] neg_lo:[1,0,0] neg_hi:[1,0,0]
	v_mov_b32_e32 v103, v39
	v_mov_b32_e32 v39, v119
	v_pk_add_f32 v[36:37], v[110:111], v[62:63]
	v_mov_b32_e32 v52, v50
	v_mov_b32_e32 v53, v41
	;; [unrolled: 1-line block ×3, first 2 shown]
	v_pk_add_f32 v[38:39], v[116:117], v[38:39] op_sel:[1,0] op_sel_hi:[0,1]
	v_pk_add_f32 v[36:37], v[36:37], v[112:113]
	v_pk_fma_f32 v[52:53], v[46:47], s[6:7], v[52:53] op_sel_hi:[1,0,1]
	v_pk_fma_f32 v[40:41], v[46:47], s[6:7], v[40:41] op_sel_hi:[1,0,1]
	v_pk_mul_f32 v[46:47], v[38:39], s[18:19] op_sel_hi:[1,0]
	v_pk_add_f32 v[36:37], v[36:37], v[104:105]
	v_pk_add_f32 v[48:49], v[48:49], v[56:57]
	v_pk_fma_f32 v[50:51], v[38:39], s[20:21], v[46:47] op_sel:[0,0,1] op_sel_hi:[1,0,0]
	v_pk_fma_f32 v[38:39], v[38:39], s[20:21], v[46:47] op_sel:[0,0,1] op_sel_hi:[1,0,0] neg_lo:[0,0,1] neg_hi:[0,0,1]
	v_pk_add_f32 v[36:37], v[36:37], v[106:107]
	v_pk_add_f32 v[48:49], v[48:49], v[58:59]
	v_mov_b32_e32 v46, v51
	v_mov_b32_e32 v47, v38
	v_pk_add_f32 v[122:123], v[48:49], v[36:37]
	v_pk_add_f32 v[38:39], v[40:41], v[46:47]
	ds_write2_b64 v132, v[122:123], v[38:39] offset1:60
	v_pk_add_f32 v[38:39], v[108:109], v[58:59]
	v_pk_add_f32 v[50:51], v[56:57], v[58:59] neg_lo:[0,1] neg_hi:[0,1]
	v_pk_fma_f32 v[34:35], v[38:39], 0.5, v[34:35] op_sel_hi:[1,0,1] neg_lo:[1,0,0] neg_hi:[1,0,0]
	v_pk_add_f32 v[38:39], v[54:55], v[108:109] neg_lo:[0,1] neg_hi:[0,1]
	v_pk_add_f32 v[54:55], v[112:113], v[62:63] neg_lo:[0,1] neg_hi:[0,1]
	v_pk_add_f32 v[38:39], v[38:39], v[50:51]
	v_pk_fma_f32 v[50:51], v[44:45], s[4:5], v[34:35] op_sel:[1,0,0] op_sel_hi:[0,0,1] neg_lo:[1,0,0] neg_hi:[1,0,0]
	v_pk_fma_f32 v[34:35], v[44:45], s[4:5], v[34:35] op_sel:[1,0,0] op_sel_hi:[0,0,1]
	v_pk_fma_f32 v[34:35], v[42:43], s[18:19], v[34:35] op_sel:[1,0,0] op_sel_hi:[0,0,1] neg_lo:[1,0,0] neg_hi:[1,0,0]
	v_pk_fma_f32 v[42:43], v[42:43], s[18:19], v[50:51] op_sel:[1,0,0] op_sel_hi:[0,0,1]
	v_pk_add_f32 v[50:51], v[62:63], v[106:107]
	v_pk_add_f32 v[56:57], v[104:105], v[106:107] neg_lo:[0,1] neg_hi:[0,1]
	v_pk_fma_f32 v[50:51], v[50:51], 0.5, v[110:111] op_sel_hi:[1,0,1] neg_lo:[1,0,0] neg_hi:[1,0,0]
	v_pk_add_f32 v[54:55], v[54:55], v[56:57]
	v_pk_mul_f32 v[56:57], v[114:115], s[4:5] op_sel_hi:[1,0]
	v_pk_mul_f32 v[58:59], v[60:61], s[18:19] op_sel_hi:[1,0]
	v_pk_add_f32 v[60:61], v[50:51], v[56:57] op_sel:[0,1] op_sel_hi:[1,0] neg_lo:[0,1] neg_hi:[0,1]
	v_pk_add_f32 v[50:51], v[50:51], v[56:57] op_sel:[0,1] op_sel_hi:[1,0]
	v_pk_add_f32 v[56:57], v[60:61], v[58:59] op_sel:[0,1] op_sel_hi:[1,0]
	v_pk_add_f32 v[50:51], v[50:51], v[58:59] op_sel:[0,1] op_sel_hi:[1,0] neg_lo:[0,1] neg_hi:[0,1]
	v_mov_b32_e32 v102, v118
	v_mov_b32_e32 v58, v56
	;; [unrolled: 1-line block ×3, first 2 shown]
	v_pk_add_f32 v[102:103], v[116:117], v[102:103] op_sel:[1,0] op_sel_hi:[0,1]
	v_mov_b32_e32 v44, v42
	v_mov_b32_e32 v45, v35
	v_pk_fma_f32 v[58:59], v[54:55], s[6:7], v[58:59] op_sel_hi:[1,0,1]
	v_mov_b32_e32 v35, v43
	v_mov_b32_e32 v51, v57
	v_pk_mul_f32 v[120:121], v[102:103], s[20:21] op_sel_hi:[1,0]
	v_pk_fma_f32 v[44:45], v[38:39], s[6:7], v[44:45] op_sel_hi:[1,0,1]
	v_pk_mul_f32 v[60:61], v[58:59], s[4:5] op_sel_hi:[1,0]
	v_pk_fma_f32 v[34:35], v[38:39], s[6:7], v[34:35] op_sel_hi:[1,0,1]
	v_pk_fma_f32 v[38:39], v[54:55], s[6:7], v[50:51] op_sel_hi:[1,0,1]
	v_pk_fma_f32 v[120:121], v[102:103], s[18:19], v[120:121] op_sel:[0,0,1] op_sel_hi:[1,1,0] neg_lo:[0,0,1] neg_hi:[0,0,1]
	v_pk_fma_f32 v[62:63], v[58:59], s[6:7], v[60:61] op_sel:[0,0,1] op_sel_hi:[1,0,0]
	v_pk_fma_f32 v[58:59], v[58:59], s[6:7], v[60:61] op_sel:[0,0,1] op_sel_hi:[1,0,0] neg_lo:[0,0,1] neg_hi:[0,0,1]
	s_mov_b32 s18, 0xbf737871
	s_mov_b32 s19, s4
	v_pk_mul_f32 v[42:43], v[38:39], s[6:7] op_sel_hi:[1,0]
	v_mov_b32_e32 v63, v59
	v_pk_fma_f32 v[38:39], v[38:39], s[18:19], v[42:43] op_sel:[0,0,1] op_sel_hi:[1,1,0] neg_lo:[0,0,1] neg_hi:[0,0,1]
	v_pk_add_f32 v[58:59], v[44:45], v[62:63]
	v_pk_add_f32 v[42:43], v[34:35], v[38:39] op_sel:[0,1] op_sel_hi:[1,0]
	ds_write2_b64 v132, v[58:59], v[42:43] offset0:120 offset1:180
	v_pk_add_f32 v[42:43], v[52:53], v[120:121]
	v_pk_add_f32 v[36:37], v[48:49], v[36:37] neg_lo:[0,1] neg_hi:[0,1]
	ds_write2_b64 v33, v[42:43], v[36:37] offset0:112 offset1:172
	v_pk_add_f32 v[36:37], v[40:41], v[46:47] neg_lo:[0,1] neg_hi:[0,1]
	v_pk_add_f32 v[40:41], v[44:45], v[62:63] neg_lo:[0,1] neg_hi:[0,1]
	v_add_u32_e32 v33, 0x800, v132
	v_pk_add_f32 v[102:103], v[52:53], v[120:121] neg_lo:[0,1] neg_hi:[0,1]
	ds_write2_b64 v33, v[36:37], v[40:41] offset0:104 offset1:164
	v_pk_add_f32 v[34:35], v[34:35], v[38:39] op_sel:[0,1] op_sel_hi:[1,0] neg_lo:[0,1] neg_hi:[0,1]
	v_add_u32_e32 v33, 0xc00, v132
	ds_write2_b64 v33, v[34:35], v[102:103] offset0:96 offset1:156
	v_add_u32_e32 v33, 0xb00, v64
	s_waitcnt lgkmcnt(0)
	s_barrier
	ds_read2_b64 v[48:51], v33 offset0:8 offset1:248
	v_add_u32_e32 v33, 0x2400, v64
	ds_read2_b64 v[56:59], v64 offset1:180
	ds_read2_b64 v[60:63], v33 offset0:48 offset1:228
	ds_read2_b64 v[52:55], v101 offset0:12 offset1:192
	ds_read_b64 v[106:107], v64 offset:12480
	v_cmp_gt_u16_e64 s[4:5], 60, v66
	s_and_saveexec_b64 s[6:7], s[4:5]
	s_cbranch_execz .LBB0_7
; %bb.6:
	ds_read_b64 v[98:99], v64 offset:13920
	ds_read_b64 v[102:103], v64 offset:4320
	;; [unrolled: 1-line block ×3, first 2 shown]
	s_waitcnt lgkmcnt(2)
	v_mov_b32_e32 v100, v99
.LBB0_7:
	s_or_b64 exec, exec, s[6:7]
	v_lshlrev_b32_e32 v104, 4, v66
	v_mov_b32_e32 v105, 0
	v_lshl_add_u64 v[36:37], s[14:15], 0, v[104:105]
	v_add_co_u32_e32 v44, vcc, 0x1000, v36
	v_lshlrev_b32_e32 v32, 4, v32
	v_mov_b32_e32 v33, v105
	s_mov_b64 s[6:7], 0x21c
	v_addc_co_u32_e32 v45, vcc, 0, v37, vcc
	v_lshl_add_u64 v[32:33], s[14:15], 0, v[32:33]
	v_lshl_add_u64 v[34:35], v[66:67], 0, s[6:7]
	v_add_co_u32_e32 v32, vcc, 0x1000, v32
	s_movk_i32 s6, 0xffc4
	s_nop 0
	v_addc_co_u32_e32 v33, vcc, 0, v33, vcc
	s_mov_b32 s7, -1
	global_load_dwordx4 v[36:39], v[44:45], off offset:624
	global_load_dwordx4 v[40:43], v[32:33], off offset:624
	v_add_u32_e32 v104, 0x1680, v104
	v_lshl_add_u64 v[32:33], v[66:67], 0, s[6:7]
	v_lshl_add_u64 v[44:45], s[14:15], 0, v[104:105]
	v_cndmask_b32_e64 v33, v33, v35, s[4:5]
	v_cndmask_b32_e64 v32, v32, v34, s[4:5]
	s_movk_i32 s18, 0x1000
	v_add_co_u32_e32 v44, vcc, 0x1000, v44
	v_lshl_add_u64 v[32:33], v[32:33], 4, s[14:15]
	s_mov_b64 s[6:7], vcc
	v_add_co_u32_e32 v32, vcc, s18, v32
	s_waitcnt vmcnt(1) lgkmcnt(4)
	v_pk_mul_f32 v[108:109], v[50:51], v[36:37] op_sel:[0,1]
	v_addc_co_u32_e32 v33, vcc, 0, v33, vcc
	global_load_dwordx4 v[32:35], v[32:33], off offset:624
	v_addc_co_u32_e64 v45, vcc, 0, v45, s[6:7]
	global_load_dwordx4 v[44:47], v[44:45], off offset:624
	v_mov_b32_e32 v104, v39
	v_pk_fma_f32 v[110:111], v[50:51], v[36:37], v[108:109] op_sel:[0,0,1] op_sel_hi:[1,1,0] neg_lo:[0,0,1] neg_hi:[0,0,1]
	v_pk_fma_f32 v[50:51], v[50:51], v[36:37], v[108:109] op_sel:[0,0,1] op_sel_hi:[1,0,0]
	s_waitcnt lgkmcnt(2)
	v_pk_mul_f32 v[108:109], v[60:61], v[104:105] op_sel_hi:[1,0]
	s_waitcnt vmcnt(2) lgkmcnt(1)
	v_pk_mul_f32 v[112:113], v[52:53], v[40:41] op_sel:[0,1]
	v_mov_b32_e32 v50, v43
	v_mov_b32_e32 v111, v51
	v_pk_fma_f32 v[114:115], v[60:61], v[38:39], v[108:109] op_sel:[0,0,1] op_sel_hi:[1,1,0] neg_lo:[0,0,1] neg_hi:[0,0,1]
	v_pk_fma_f32 v[60:61], v[60:61], v[38:39], v[108:109] op_sel:[0,0,1] op_sel_hi:[1,0,0]
	v_pk_fma_f32 v[108:109], v[52:53], v[40:41], v[112:113] op_sel:[0,0,1] op_sel_hi:[1,1,0] neg_lo:[0,0,1] neg_hi:[0,0,1]
	v_pk_fma_f32 v[52:53], v[52:53], v[40:41], v[112:113] op_sel:[0,0,1] op_sel_hi:[1,0,0]
	v_pk_mul_f32 v[50:51], v[62:63], v[50:51] op_sel_hi:[1,0]
	v_mov_b32_e32 v115, v61
	v_pk_add_f32 v[60:61], v[56:57], v[110:111]
	v_mov_b32_e32 v109, v53
	v_pk_fma_f32 v[116:117], v[62:63], v[42:43], v[50:51] op_sel:[0,0,1] op_sel_hi:[1,1,0] neg_lo:[0,0,1] neg_hi:[0,0,1]
	v_pk_fma_f32 v[50:51], v[62:63], v[42:43], v[50:51] op_sel:[0,0,1] op_sel_hi:[1,0,0]
	s_mov_b32 s6, 0x3f5db3d7
	v_mov_b32_e32 v117, v51
	s_waitcnt vmcnt(1) lgkmcnt(0)
	v_pk_mul_f32 v[112:113], v[96:97], v[32:33] op_sel_hi:[0,1]
	v_pk_mul_f32 v[98:99], v[98:99], v[34:35] op_sel_hi:[0,1]
	v_pk_fma_f32 v[62:63], v[96:97], v[32:33], v[112:113] op_sel:[1,0,1] op_sel_hi:[1,1,0]
	v_pk_fma_f32 v[52:53], v[96:97], v[32:33], v[112:113] op_sel:[1,0,1] op_sel_hi:[1,1,0] neg_lo:[1,0,0] neg_hi:[1,0,0]
	v_pk_fma_f32 v[96:97], v[100:101], v[34:35], v[98:99] op_sel:[0,0,1] op_sel_hi:[1,1,0]
	v_pk_fma_f32 v[98:99], v[100:101], v[34:35], v[98:99] op_sel:[0,0,1] op_sel_hi:[0,1,0] neg_lo:[1,0,0] neg_hi:[1,0,0]
	v_pk_add_f32 v[112:113], v[60:61], v[114:115]
	v_pk_add_f32 v[60:61], v[110:111], v[114:115]
	v_pk_add_f32 v[110:111], v[110:111], v[114:115] neg_lo:[0,1] neg_hi:[0,1]
	v_mov_b32_e32 v63, v53
	v_mov_b32_e32 v50, v53
	;; [unrolled: 1-line block ×5, first 2 shown]
	v_pk_add_f32 v[114:115], v[58:59], v[108:109]
	v_mov_b32_e32 v97, v99
	v_pk_fma_f32 v[56:57], v[60:61], 0.5, v[56:57] op_sel_hi:[1,0,1] neg_lo:[1,0,0] neg_hi:[1,0,0]
	v_pk_mul_f32 v[60:61], v[110:111], s[6:7] op_sel_hi:[1,0]
	v_pk_add_f32 v[110:111], v[50:51], v[52:53]
	v_pk_add_f32 v[98:99], v[114:115], v[116:117]
	v_pk_add_f32 v[62:63], v[62:63], v[96:97] neg_lo:[0,1] neg_hi:[0,1]
	v_pk_add_f32 v[96:97], v[56:57], v[60:61] op_sel:[0,1] op_sel_hi:[1,0]
	v_pk_add_f32 v[114:115], v[56:57], v[60:61] op_sel:[0,1] op_sel_hi:[1,0] neg_lo:[0,1] neg_hi:[0,1]
	v_pk_fma_f32 v[56:57], v[110:111], 0.5, v[102:103] op_sel_hi:[1,0,1] neg_lo:[1,0,0] neg_hi:[1,0,0]
	v_mov_b32_e32 v110, v96
	v_pk_fma_f32 v[60:61], v[62:63], s[6:7], v[56:57] op_sel_hi:[1,0,1] neg_lo:[1,0,0] neg_hi:[1,0,0]
	v_pk_fma_f32 v[56:57], v[62:63], s[6:7], v[56:57] op_sel_hi:[1,0,1]
	v_pk_add_f32 v[62:63], v[108:109], v[116:117]
	v_mov_b32_e32 v111, v115
	v_pk_fma_f32 v[58:59], v[62:63], 0.5, v[58:59] op_sel_hi:[1,0,1] neg_lo:[1,0,0] neg_hi:[1,0,0]
	v_pk_add_f32 v[62:63], v[108:109], v[116:117] neg_lo:[0,1] neg_hi:[0,1]
	v_mov_b32_e32 v115, v97
	v_pk_mul_f32 v[62:63], v[62:63], s[6:7] op_sel_hi:[1,0]
	ds_write_b64 v64, v[110:111] offset:4800
	ds_write_b64 v64, v[114:115] offset:9600
	ds_write2_b64 v64, v[112:113], v[98:99] offset1:180
	v_pk_add_f32 v[96:97], v[58:59], v[62:63] op_sel:[0,1] op_sel_hi:[1,0]
	v_pk_add_f32 v[58:59], v[58:59], v[62:63] op_sel:[0,1] op_sel_hi:[1,0] neg_lo:[0,1] neg_hi:[0,1]
	v_mov_b32_e32 v62, v96
	v_mov_b32_e32 v63, v59
	;; [unrolled: 1-line block ×3, first 2 shown]
	ds_write_b64 v64, v[58:59] offset:11040
	s_waitcnt vmcnt(0)
	v_pk_mul_f32 v[58:59], v[54:55], v[44:45] op_sel:[0,1]
	s_nop 0
	v_pk_fma_f32 v[96:97], v[54:55], v[44:45], v[58:59] op_sel:[0,0,1] op_sel_hi:[1,1,0] neg_lo:[0,0,1] neg_hi:[0,0,1]
	v_pk_fma_f32 v[54:55], v[54:55], v[44:45], v[58:59] op_sel:[0,0,1] op_sel_hi:[1,0,0]
	s_nop 0
	v_mov_b32_e32 v54, v47
	v_mov_b32_e32 v97, v55
	v_pk_mul_f32 v[54:55], v[106:107], v[54:55] op_sel_hi:[1,0]
	s_nop 0
	v_pk_fma_f32 v[58:59], v[106:107], v[46:47], v[54:55] op_sel:[0,0,1] op_sel_hi:[1,1,0] neg_lo:[0,0,1] neg_hi:[0,0,1]
	v_pk_fma_f32 v[54:55], v[106:107], v[46:47], v[54:55] op_sel:[0,0,1] op_sel_hi:[1,0,0]
	s_nop 0
	v_mov_b32_e32 v59, v55
	v_pk_add_f32 v[54:55], v[48:49], v[96:97]
	s_nop 0
	v_pk_add_f32 v[54:55], v[54:55], v[58:59]
	ds_write_b64 v64, v[54:55] offset:2880
	v_pk_add_f32 v[54:55], v[96:97], v[58:59]
	s_nop 0
	v_pk_fma_f32 v[48:49], v[54:55], 0.5, v[48:49] op_sel_hi:[1,0,1] neg_lo:[1,0,0] neg_hi:[1,0,0]
	v_pk_add_f32 v[54:55], v[96:97], v[58:59] neg_lo:[0,1] neg_hi:[0,1]
	s_nop 0
	v_pk_mul_f32 v[54:55], v[54:55], s[6:7] op_sel_hi:[1,0]
	s_nop 0
	v_pk_add_f32 v[58:59], v[48:49], v[54:55] op_sel:[0,1] op_sel_hi:[1,0]
	v_pk_add_f32 v[48:49], v[48:49], v[54:55] op_sel:[0,1] op_sel_hi:[1,0] neg_lo:[0,1] neg_hi:[0,1]
	v_mov_b32_e32 v54, v58
	v_mov_b32_e32 v55, v49
	;; [unrolled: 1-line block ×3, first 2 shown]
	ds_write2_b64 v101, v[62:63], v[54:55] offset0:12 offset1:192
	ds_write_b64 v64, v[48:49] offset:12480
	s_and_saveexec_b64 s[6:7], s[4:5]
	s_cbranch_execz .LBB0_9
; %bb.8:
	v_pk_add_f32 v[48:49], v[102:103], v[50:51]
	s_nop 0
	v_pk_add_f32 v[48:49], v[48:49], v[52:53]
	ds_write_b64 v64, v[48:49] offset:4320
	v_mov_b32_e32 v48, v56
	v_mov_b32_e32 v49, v61
	ds_write_b64 v64, v[48:49] offset:9120
	v_mov_b32_e32 v48, v60
	v_mov_b32_e32 v49, v57
	ds_write_b64 v64, v[48:49] offset:13920
.LBB0_9:
	s_or_b64 exec, exec, s[6:7]
	v_lshlrev_b32_e32 v104, 3, v66
	v_lshl_add_u64 v[48:49], s[12:13], 0, v[104:105]
	s_mov_b64 s[6:7], 0x3840
	v_lshl_add_u64 v[50:51], v[48:49], 0, s[6:7]
	v_add_co_u32_e32 v52, vcc, 0x3000, v48
	s_waitcnt lgkmcnt(0)
	s_barrier
	global_load_dwordx2 v[54:55], v[50:51], off offset:1440
	v_addc_co_u32_e32 v53, vcc, 0, v49, vcc
	global_load_dwordx2 v[52:53], v[52:53], off offset:2112
	s_movk_i32 s6, 0x4000
	v_add_co_u32_e32 v58, vcc, s6, v48
	s_movk_i32 s6, 0x5000
	s_nop 0
	v_addc_co_u32_e32 v59, vcc, 0, v49, vcc
	global_load_dwordx2 v[62:63], v[58:59], off offset:2336
	global_load_dwordx2 v[104:105], v[50:51], off offset:2880
	v_add_co_u32_e32 v50, vcc, s6, v48
	s_movk_i32 s6, 0x6000
	s_nop 0
	v_addc_co_u32_e32 v51, vcc, 0, v49, vcc
	v_add_co_u32_e32 v48, vcc, s6, v48
	global_load_dwordx2 v[106:107], v[58:59], off offset:3776
	global_load_dwordx2 v[108:109], v[50:51], off offset:1120
	;; [unrolled: 1-line block ×4, first 2 shown]
	v_addc_co_u32_e32 v49, vcc, 0, v49, vcc
	global_load_dwordx2 v[58:59], v[48:49], off offset:1344
	global_load_dwordx2 v[114:115], v[48:49], off offset:2784
	ds_read2_b64 v[48:51], v64 offset1:180
	v_add_u32_e32 v67, 0xa00, v64
	v_add_u32_e32 v118, 0x1600, v64
	;; [unrolled: 1-line block ×4, first 2 shown]
	s_mov_b32 s12, 0x3f737871
	s_mov_b32 s6, 0x3f167918
	;; [unrolled: 1-line block ×4, first 2 shown]
	s_waitcnt vmcnt(9) lgkmcnt(0)
	v_mul_f32_e32 v96, v51, v55
	v_mul_f32_e32 v97, v50, v55
	v_fma_f32 v96, v50, v54, -v96
	v_fmac_f32_e32 v97, v51, v54
	s_waitcnt vmcnt(8)
	v_mul_f32_e32 v50, v49, v53
	v_mul_f32_e32 v51, v48, v53
	v_fma_f32 v50, v48, v52, -v50
	v_fmac_f32_e32 v51, v49, v52
	ds_write2_b64 v64, v[50:51], v[96:97] offset1:180
	ds_read2_b64 v[48:51], v67 offset0:40 offset1:220
	ds_read2_b64 v[52:55], v118 offset0:16 offset1:196
	;; [unrolled: 1-line block ×4, first 2 shown]
	s_waitcnt vmcnt(6) lgkmcnt(3)
	v_mul_f32_e32 v116, v49, v105
	v_mul_f32_e32 v117, v48, v105
	;; [unrolled: 1-line block ×4, first 2 shown]
	s_waitcnt vmcnt(5) lgkmcnt(2)
	v_mul_f32_e32 v122, v53, v107
	v_mul_f32_e32 v63, v52, v107
	s_waitcnt vmcnt(4)
	v_mul_f32_e32 v123, v55, v109
	v_mul_f32_e32 v107, v54, v109
	s_waitcnt vmcnt(3) lgkmcnt(1)
	v_mul_f32_e32 v124, v97, v111
	v_mul_f32_e32 v109, v96, v111
	s_waitcnt vmcnt(2)
	v_mul_f32_e32 v125, v99, v113
	v_mul_f32_e32 v111, v98, v113
	;; [unrolled: 6-line block ×3, first 2 shown]
	v_fma_f32 v116, v48, v104, -v116
	v_fmac_f32_e32 v117, v49, v104
	v_fma_f32 v104, v50, v62, -v121
	v_fmac_f32_e32 v105, v51, v62
	;; [unrolled: 2-line block ×8, first 2 shown]
	ds_write2_b64 v67, v[116:117], v[104:105] offset0:40 offset1:220
	ds_write2_b64 v118, v[62:63], v[106:107] offset0:16 offset1:196
	;; [unrolled: 1-line block ×4, first 2 shown]
	s_waitcnt lgkmcnt(0)
	s_barrier
	ds_read2_b64 v[48:51], v64 offset1:180
	ds_read2_b64 v[52:55], v118 offset0:16 offset1:196
	ds_read2_b64 v[96:99], v119 offset0:56 offset1:236
	;; [unrolled: 1-line block ×4, first 2 shown]
	s_waitcnt lgkmcnt(0)
	s_barrier
	v_pk_add_f32 v[58:59], v[52:53], v[96:97]
	v_pk_add_f32 v[110:111], v[52:53], v[96:97] neg_lo:[0,1] neg_hi:[0,1]
	v_pk_add_f32 v[62:63], v[100:101], v[104:105] neg_lo:[0,1] neg_hi:[0,1]
	v_pk_fma_f32 v[58:59], v[58:59], 0.5, v[48:49] op_sel_hi:[1,0,1] neg_lo:[1,0,0] neg_hi:[1,0,0]
	v_pk_mul_f32 v[108:109], v[62:63], s[12:13] op_sel_hi:[1,0]
	v_pk_add_f32 v[114:115], v[100:101], v[52:53] neg_lo:[0,1] neg_hi:[0,1]
	v_pk_add_f32 v[116:117], v[104:105], v[96:97] neg_lo:[0,1] neg_hi:[0,1]
	v_pk_mul_f32 v[112:113], v[110:111], s[6:7] op_sel_hi:[1,0]
	v_pk_add_f32 v[114:115], v[114:115], v[116:117]
	v_pk_add_f32 v[116:117], v[58:59], v[108:109] op_sel:[0,1] op_sel_hi:[1,0] neg_lo:[0,1] neg_hi:[0,1]
	v_pk_add_f32 v[58:59], v[58:59], v[108:109] op_sel:[0,1] op_sel_hi:[1,0]
	v_pk_add_f32 v[108:109], v[116:117], v[112:113] op_sel:[0,1] op_sel_hi:[1,0] neg_lo:[0,1] neg_hi:[0,1]
	v_pk_add_f32 v[116:117], v[100:101], v[104:105]
	v_pk_mul_f32 v[110:111], v[110:111], s[12:13] op_sel_hi:[1,0]
	v_pk_fma_f32 v[116:117], v[116:117], 0.5, v[48:49] op_sel_hi:[1,0,1] neg_lo:[1,0,0] neg_hi:[1,0,0]
	v_pk_add_f32 v[118:119], v[52:53], v[100:101] neg_lo:[0,1] neg_hi:[0,1]
	v_pk_add_f32 v[120:121], v[96:97], v[104:105] neg_lo:[0,1] neg_hi:[0,1]
	v_pk_mul_f32 v[62:63], v[62:63], s[6:7] op_sel_hi:[1,0]
	v_pk_add_f32 v[118:119], v[118:119], v[120:121]
	v_pk_add_f32 v[120:121], v[116:117], v[110:111] op_sel:[0,1] op_sel_hi:[1,0]
	v_pk_add_f32 v[110:111], v[116:117], v[110:111] op_sel:[0,1] op_sel_hi:[1,0] neg_lo:[0,1] neg_hi:[0,1]
	v_pk_add_f32 v[58:59], v[58:59], v[112:113] op_sel:[0,1] op_sel_hi:[1,0]
	v_pk_add_f32 v[110:111], v[110:111], v[62:63] op_sel:[0,1] op_sel_hi:[1,0]
	v_pk_add_f32 v[62:63], v[120:121], v[62:63] op_sel:[0,1] op_sel_hi:[1,0] neg_lo:[0,1] neg_hi:[0,1]
	v_mov_b32_e32 v112, v108
	v_mov_b32_e32 v113, v59
	;; [unrolled: 1-line block ×5, first 2 shown]
	v_pk_add_f32 v[48:49], v[48:49], v[100:101]
	v_pk_fma_f32 v[112:113], v[114:115], s[14:15], v[112:113] op_sel_hi:[1,0,1]
	v_mov_b32_e32 v116, v62
	v_pk_fma_f32 v[62:63], v[118:119], s[14:15], v[110:111] op_sel_hi:[1,0,1]
	v_pk_fma_f32 v[58:59], v[114:115], s[14:15], v[58:59] op_sel_hi:[1,0,1]
	v_mov_b32_e32 v110, v54
	v_mov_b32_e32 v111, v98
	v_mov_b32_e32 v114, v102
	v_mov_b32_e32 v115, v106
	v_pk_add_f32 v[48:49], v[48:49], v[52:53]
	v_pk_fma_f32 v[116:117], v[118:119], s[14:15], v[116:117] op_sel_hi:[1,0,1]
	v_pk_add_f32 v[108:109], v[102:103], v[106:107]
	v_pk_add_f32 v[110:111], v[110:111], v[114:115] neg_lo:[0,1] neg_hi:[0,1]
	v_pk_add_f32 v[114:115], v[50:51], v[102:103]
	v_pk_add_f32 v[118:119], v[54:55], v[98:99]
	;; [unrolled: 1-line block ×3, first 2 shown]
	v_fma_f32 v67, -0.5, v108, v50
	v_mov_b32_e32 v108, v111
	v_pk_add_f32 v[114:115], v[114:115], v[54:55]
	v_pk_add_f32 v[120:121], v[102:103], v[106:107] neg_lo:[0,1] neg_hi:[0,1]
	v_pk_add_f32 v[100:101], v[48:49], v[104:105]
	v_pk_fma_f32 v[48:49], v[118:119], 0.5, v[50:51] op_sel_hi:[1,0,1] neg_lo:[1,0,0] neg_hi:[1,0,0]
	v_pk_add_f32 v[52:53], v[54:55], v[98:99] neg_lo:[0,1] neg_hi:[0,1]
	v_pk_add_f32 v[110:111], v[110:111], v[108:109]
	v_pk_add_f32 v[114:115], v[114:115], v[98:99]
	v_fma_f32 v124, -0.5, v109, v51
	v_mov_b32_e32 v108, v55
	v_mov_b32_e32 v109, v99
	v_pk_fma_f32 v[50:51], v[120:121], s[12:13], v[48:49] op_sel:[1,0,0] op_sel_hi:[0,0,1]
	v_pk_mul_f32 v[96:97], v[52:53], s[6:7] op_sel_hi:[1,0]
	v_pk_add_f32 v[54:55], v[102:103], v[54:55] neg_lo:[0,1] neg_hi:[0,1]
	v_pk_add_f32 v[98:99], v[106:107], v[98:99] neg_lo:[0,1] neg_hi:[0,1]
	v_mov_b32_e32 v111, v121
	s_mov_b32 s15, s6
	v_mov_b32_e32 v122, v103
	v_mov_b32_e32 v123, v107
	v_pk_add_f32 v[50:51], v[96:97], v[50:51] op_sel:[1,0] op_sel_hi:[0,1]
	v_pk_add_f32 v[54:55], v[54:55], v[98:99]
	v_pk_mul_f32 v[110:111], v[110:111], s[14:15]
	v_pk_add_f32 v[108:109], v[108:109], v[122:123] neg_lo:[0,1] neg_hi:[0,1]
	v_pk_fma_f32 v[98:99], v[54:55], s[14:15], v[50:51] op_sel_hi:[1,0,1]
	v_fmamk_f32 v50, v53, 0x3f737871, v67
	v_mov_b32_e32 v122, v109
	v_sub_f32_e32 v50, v50, v111
	v_fmac_f32_e32 v67, 0xbf737871, v53
	v_pk_fma_f32 v[48:49], v[120:121], s[12:13], v[48:49] op_sel:[1,0,0] op_sel_hi:[0,0,1] neg_lo:[1,0,0] neg_hi:[1,0,0]
	v_pk_add_f32 v[108:109], v[108:109], v[122:123]
	v_add_f32_e32 v102, v110, v50
	v_add_f32_e32 v50, v111, v67
	v_pk_add_f32 v[48:49], v[48:49], v[96:97] op_sel:[0,1] op_sel_hi:[1,0] neg_lo:[0,1] neg_hi:[0,1]
	v_mov_b32_e32 v109, v120
	v_add_f32_e32 v104, v110, v50
	v_mov_b32_e32 v50, v48
	v_pk_mul_f32 v[108:109], v[108:109], s[14:15]
	v_pk_fma_f32 v[50:51], v[54:55], s[14:15], v[50:51] op_sel_hi:[1,0,1]
	v_pk_fma_f32 v[54:55], v[54:55], s[14:15], v[48:49] op_sel_hi:[1,0,1]
	v_fmamk_f32 v48, v52, 0xbf737871, v124
	v_add_f32_e32 v48, v109, v48
	v_fmac_f32_e32 v124, 0x3f737871, v52
	v_pk_add_f32 v[114:115], v[114:115], v[106:107]
	v_add_f32_e32 v106, v108, v48
	v_sub_f32_e32 v48, v124, v109
	v_add_f32_e32 v52, v108, v48
	v_pk_mul_f32 v[48:49], v[50:51], s[6:7] op_sel_hi:[1,0]
	s_mov_b32 s13, s14
	v_pk_fma_f32 v[108:109], v[50:51], s[18:19], v[48:49] op_sel:[0,0,1] op_sel_hi:[1,0,0] neg_lo:[0,0,1] neg_hi:[0,0,1]
	v_pk_fma_f32 v[48:49], v[50:51], s[18:19], v[48:49] op_sel:[0,0,1] op_sel_hi:[1,0,0]
	s_mov_b32 s15, s12
	v_pk_mul_f32 v[50:51], v[106:107], s[12:13] op_sel_hi:[0,1]
	v_pk_mul_f32 v[52:53], v[52:53], s[12:13] op_sel_hi:[0,1]
	s_mov_b32 s12, 0xbf4f1bbd
	s_mov_b32 s13, s6
	;; [unrolled: 1-line block ×4, first 2 shown]
	v_mov_b32_e32 v109, v49
	v_pk_fma_f32 v[106:107], v[102:103], s[14:15], v[50:51] neg_lo:[0,0,1] neg_hi:[0,0,1]
	v_pk_fma_f32 v[50:51], v[102:103], s[14:15], v[50:51] op_sel_hi:[0,1,1]
	s_mov_b32 s14, 0xbe9e377a
	v_pk_mul_f32 v[54:55], v[54:55], s[6:7] op_sel:[1,0]
	v_pk_add_f32 v[96:97], v[100:101], v[114:115]
	v_mov_b32_e32 v107, v51
	v_pk_fma_f32 v[102:103], v[104:105], s[14:15], v[52:53] op_sel_hi:[0,1,1] neg_lo:[0,0,1] neg_hi:[0,0,1]
	v_pk_fma_f32 v[104:105], v[98:99], s[12:13], v[54:55] op_sel_hi:[0,1,1]
	v_pk_add_f32 v[98:99], v[112:113], v[108:109]
	ds_write_b128 v75, v[96:99]
	v_pk_add_f32 v[96:97], v[116:117], v[106:107]
	v_pk_add_f32 v[98:99], v[62:63], v[102:103]
	ds_write_b128 v75, v[96:99] offset:16
	v_pk_add_f32 v[96:97], v[58:59], v[104:105]
	v_pk_add_f32 v[98:99], v[100:101], v[114:115] neg_lo:[0,1] neg_hi:[0,1]
	v_pk_add_f32 v[48:49], v[112:113], v[108:109] neg_lo:[0,1] neg_hi:[0,1]
	;; [unrolled: 1-line block ×5, first 2 shown]
	ds_write_b128 v75, v[96:99] offset:32
	ds_write_b128 v75, v[48:51] offset:48
	ds_write_b128 v75, v[52:55] offset:64
	s_waitcnt lgkmcnt(0)
	s_barrier
	ds_read_b64 v[58:59], v64
	ds_read_b64 v[120:121], v64 offset:2400
	ds_read_b64 v[118:119], v64 offset:4800
	;; [unrolled: 1-line block ×5, first 2 shown]
	s_and_saveexec_b64 s[6:7], s[2:3]
	s_xor_b64 s[2:3], exec, s[6:7]
	s_or_saveexec_b64 s[2:3], s[2:3]
	v_mov_b32_e32 v130, v12
	v_mov_b32_e32 v131, v12
	;; [unrolled: 1-line block ×15, first 2 shown]
	s_xor_b64 exec, exec, s[2:3]
	s_cbranch_execz .LBB0_11
; %bb.10:
	ds_read_b64 v[62:63], v64 offset:11040
	ds_read_b64 v[60:61], v64 offset:13440
	;; [unrolled: 1-line block ×6, first 2 shown]
	s_waitcnt lgkmcnt(5)
	v_mov_b32_e32 v56, v62
	s_waitcnt lgkmcnt(4)
	v_mov_b32_e32 v57, v61
	v_mov_b32_e32 v61, v63
.LBB0_11:
	s_or_b64 exec, exec, s[2:3]
	s_waitcnt lgkmcnt(4)
	v_pk_mul_f32 v[134:135], v[12:13], v[120:121]
	s_waitcnt lgkmcnt(1)
	v_pk_mul_f32 v[140:141], v[10:11], v[114:115]
	v_pk_mul_f32 v[10:11], v[4:5], v[50:51] op_sel:[0,1]
	s_waitcnt lgkmcnt(0)
	v_pk_mul_f32 v[12:13], v[0:1], v[54:55] op_sel:[0,1]
	v_pk_mul_f32 v[138:139], v[8:9], v[116:117]
	v_pk_mul_f32 v[144:145], v[90:91], v[56:57] op_sel:[0,1]
	v_pk_fma_f32 v[8:9], v[4:5], v[50:51], v[10:11] op_sel:[0,0,1] op_sel_hi:[1,0,0]
	v_pk_fma_f32 v[4:5], v[4:5], v[50:51], v[10:11] op_sel:[0,0,1] op_sel_hi:[1,0,0] neg_lo:[1,0,0] neg_hi:[1,0,0]
	v_pk_fma_f32 v[10:11], v[0:1], v[54:55], v[12:13] op_sel:[0,0,1] op_sel_hi:[1,1,0]
	v_pk_fma_f32 v[0:1], v[0:1], v[54:55], v[12:13] op_sel:[0,0,1] op_sel_hi:[1,0,0] neg_lo:[1,0,0] neg_hi:[1,0,0]
	v_pk_fma_f32 v[12:13], v[90:91], v[60:61], v[144:145] op_sel:[0,0,1] op_sel_hi:[1,0,0] neg_lo:[1,0,0] neg_hi:[1,0,0]
	v_mov_b32_e32 v11, v1
	v_pk_fma_f32 v[0:1], v[90:91], v[60:61], v[144:145] op_sel:[0,0,1] op_sel_hi:[1,1,0]
	v_pk_mul_f32 v[136:137], v[14:15], v[118:119]
	v_mov_b32_e32 v1, v13
	v_pk_mul_f32 v[14:15], v[6:7], v[52:53] op_sel:[0,1]
	v_pk_add_f32 v[12:13], v[10:11], v[0:1]
	v_pk_mul_f32 v[142:143], v[2:3], v[60:61] op_sel:[0,1]
	v_fma_f32 v4, -0.5, v12, v8
	v_fma_f32 v90, -0.5, v13, v5
	v_pk_fma_f32 v[12:13], v[6:7], v[52:53], v[14:15] op_sel:[0,0,1] op_sel_hi:[1,1,0]
	v_pk_fma_f32 v[6:7], v[6:7], v[52:53], v[14:15] op_sel:[0,0,1] op_sel_hi:[1,0,0] neg_lo:[1,0,0] neg_hi:[1,0,0]
	v_pk_add_f32 v[50:51], v[10:11], v[0:1] neg_lo:[0,1] neg_hi:[0,1]
	v_mov_b32_e32 v13, v7
	v_pk_fma_f32 v[6:7], v[2:3], v[56:57], v[142:143] op_sel:[0,0,1] op_sel_hi:[1,1,0]
	v_pk_fma_f32 v[2:3], v[2:3], v[56:57], v[142:143] op_sel:[0,0,1] op_sel_hi:[1,0,0] neg_lo:[1,0,0] neg_hi:[1,0,0]
	s_mov_b32 s6, 0x3f5db3d7
	v_mov_b32_e32 v7, v3
	v_pk_add_f32 v[2:3], v[12:13], v[6:7]
	v_pk_add_f32 v[14:15], v[12:13], v[6:7] neg_lo:[0,1] neg_hi:[0,1]
	s_mov_b32 s12, 0.5
	v_fmamk_f32 v54, v50, 0x3f5db3d7, v90
	v_pk_fma_f32 v[2:3], v[2:3], 0.5, v[48:49] op_sel_hi:[1,0,1] neg_lo:[1,0,0] neg_hi:[1,0,0]
	v_pk_mul_f32 v[14:15], v[14:15], s[6:7] op_sel_hi:[1,0]
	s_mov_b32 s7, s12
	v_fmamk_f32 v60, v51, 0xbf5db3d7, v4
	v_fmac_f32_e32 v4, 0x3f5db3d7, v51
	v_fmac_f32_e32 v90, 0xbf5db3d7, v50
	v_pk_add_f32 v[50:51], v[2:3], v[14:15] op_sel:[0,1] op_sel_hi:[1,0] neg_lo:[0,1] neg_hi:[0,1]
	v_pk_add_f32 v[2:3], v[2:3], v[14:15] op_sel:[0,1] op_sel_hi:[1,0]
	s_mov_b32 s13, s6
	v_pk_mul_f32 v[52:53], v[54:55], s[6:7] op_sel_hi:[0,1]
	v_mov_b32_e32 v14, v50
	v_mov_b32_e32 v15, v3
	v_pk_fma_f32 v[54:55], v[60:61], s[12:13], v[52:53] neg_lo:[0,0,1] neg_hi:[0,0,1]
	v_pk_fma_f32 v[52:53], v[60:61], s[12:13], v[52:53] op_sel_hi:[0,1,1]
	v_mov_b32_e32 v3, v51
	v_pk_mul_f32 v[50:51], v[90:91], s[6:7] op_sel_hi:[0,1]
	v_pk_fma_f32 v[60:61], v[130:131], v[120:121], v[134:135] op_sel:[0,0,1] op_sel_hi:[1,1,0]
	v_pk_fma_f32 v[90:91], v[130:131], v[120:121], v[134:135] op_sel:[0,0,1] op_sel_hi:[1,1,0] neg_lo:[0,0,1] neg_hi:[0,0,1]
	v_pk_fma_f32 v[120:121], v[128:129], v[118:119], v[136:137] op_sel:[0,0,1] op_sel_hi:[1,1,0]
	v_pk_fma_f32 v[118:119], v[128:129], v[118:119], v[136:137] op_sel:[0,0,1] op_sel_hi:[1,1,0] neg_lo:[0,0,1] neg_hi:[0,0,1]
	v_pk_mul_f32 v[92:93], v[92:93], v[112:113]
	v_mov_b32_e32 v121, v119
	v_pk_fma_f32 v[118:119], v[126:127], v[116:117], v[138:139] op_sel:[0,0,1] op_sel_hi:[1,1,0]
	v_pk_fma_f32 v[116:117], v[126:127], v[116:117], v[138:139] op_sel:[0,0,1] op_sel_hi:[1,1,0] neg_lo:[0,0,1] neg_hi:[0,0,1]
	s_mov_b32 s2, -0.5
	v_mov_b32_e32 v119, v117
	v_pk_fma_f32 v[116:117], v[124:125], v[114:115], v[140:141] op_sel:[0,0,1] op_sel_hi:[1,1,0]
	v_pk_fma_f32 v[114:115], v[124:125], v[114:115], v[140:141] op_sel:[0,0,1] op_sel_hi:[1,1,0] neg_lo:[0,0,1] neg_hi:[0,0,1]
	s_mov_b32 s3, s6
	v_mov_b32_e32 v117, v115
	v_pk_fma_f32 v[114:115], v[122:123], v[112:113], v[92:93] op_sel:[0,0,1] op_sel_hi:[1,1,0]
	v_pk_fma_f32 v[92:93], v[122:123], v[112:113], v[92:93] op_sel:[0,0,1] op_sel_hi:[1,1,0] neg_lo:[0,0,1] neg_hi:[0,0,1]
	v_pk_fma_f32 v[56:57], v[4:5], s[2:3], v[50:51] op_sel_hi:[0,1,1] neg_lo:[0,0,1] neg_hi:[0,0,1]
	v_mov_b32_e32 v115, v93
	v_pk_add_f32 v[112:113], v[118:119], v[114:115]
	v_mov_b32_e32 v61, v91
	v_pk_add_f32 v[92:93], v[58:59], v[120:121]
	v_mov_b32_e32 v4, v60
	v_pk_add_f32 v[122:123], v[118:119], v[114:115] neg_lo:[0,1] neg_hi:[0,1]
	v_fmac_f32_e32 v91, -0.5, v113
	v_pk_add_f32 v[92:93], v[92:93], v[116:117]
	v_fmac_f32_e32 v4, -0.5, v112
	v_pk_add_f32 v[60:61], v[60:61], v[118:119]
	v_fmamk_f32 v112, v122, 0x3f5db3d7, v91
	v_pk_add_f32 v[118:119], v[120:121], v[116:117]
	v_pk_add_f32 v[116:117], v[120:121], v[116:117] neg_lo:[0,1] neg_hi:[0,1]
	v_fmamk_f32 v90, v123, 0xbf5db3d7, v4
	v_fmac_f32_e32 v91, 0xbf5db3d7, v122
	v_pk_fma_f32 v[58:59], v[118:119], 0.5, v[58:59] op_sel_hi:[1,0,1] neg_lo:[1,0,0] neg_hi:[1,0,0]
	v_pk_mul_f32 v[116:117], v[116:117], s[6:7] op_sel_hi:[1,0]
	v_pk_mul_f32 v[112:113], v[112:113], s[6:7] op_sel_hi:[0,1]
	v_pk_add_f32 v[118:119], v[58:59], v[116:117] op_sel:[0,1] op_sel_hi:[1,0] neg_lo:[0,1] neg_hi:[0,1]
	v_pk_add_f32 v[58:59], v[58:59], v[116:117] op_sel:[0,1] op_sel_hi:[1,0]
	v_pk_fma_f32 v[120:121], v[90:91], s[12:13], v[112:113] neg_lo:[0,0,1] neg_hi:[0,0,1]
	v_pk_fma_f32 v[112:113], v[90:91], s[12:13], v[112:113] op_sel_hi:[0,1,1]
	v_mov_b32_e32 v90, v91
	v_fmac_f32_e32 v4, 0x3f5db3d7, v123
	v_pk_add_f32 v[60:61], v[60:61], v[114:115]
	v_mov_b32_e32 v116, v118
	v_mov_b32_e32 v117, v59
	v_mov_b32_e32 v121, v113
	v_pk_mul_f32 v[90:91], v[90:91], s[6:7] op_sel_hi:[0,1]
	v_pk_add_f32 v[114:115], v[92:93], v[60:61]
	v_pk_add_f32 v[112:113], v[116:117], v[120:121]
	v_pk_fma_f32 v[90:91], v[4:5], s[2:3], v[90:91] op_sel_hi:[0,1,1] neg_lo:[0,0,1] neg_hi:[0,0,1]
	v_mov_b32_e32 v59, v119
	v_mov_b32_e32 v55, v53
	s_barrier
	ds_write2_b64 v65, v[114:115], v[112:113] offset1:10
	v_pk_add_f32 v[112:113], v[58:59], v[90:91]
	v_pk_add_f32 v[60:61], v[92:93], v[60:61] neg_lo:[0,1] neg_hi:[0,1]
	v_mov_b32_e32 v110, v30
	v_mov_b32_e32 v111, v30
	;; [unrolled: 1-line block ×27, first 2 shown]
	v_pk_add_f32 v[52:53], v[14:15], v[54:55] neg_lo:[0,1] neg_hi:[0,1]
	v_pk_add_f32 v[50:51], v[2:3], v[56:57] neg_lo:[0,1] neg_hi:[0,1]
	ds_write2_b64 v65, v[112:113], v[60:61] offset0:20 offset1:30
	v_pk_add_f32 v[60:61], v[116:117], v[120:121] neg_lo:[0,1] neg_hi:[0,1]
	v_pk_add_f32 v[58:59], v[58:59], v[90:91] neg_lo:[0,1] neg_hi:[0,1]
	ds_write2_b64 v65, v[60:61], v[58:59] offset0:40 offset1:50
	s_and_saveexec_b64 s[2:3], s[0:1]
	s_cbranch_execz .LBB0_13
; %bb.12:
	v_mov_b32_e32 v9, v5
	v_pk_add_f32 v[4:5], v[8:9], v[10:11]
	v_pk_add_f32 v[10:11], v[48:49], v[12:13]
	;; [unrolled: 1-line block ×4, first 2 shown]
	v_lshlrev_b32_e32 v58, 3, v133
	v_pk_add_f32 v[8:9], v[14:15], v[54:55]
	v_pk_add_f32 v[4:5], v[6:7], v[0:1] neg_lo:[0,1] neg_hi:[0,1]
	v_pk_add_f32 v[0:1], v[6:7], v[0:1]
	v_pk_add_f32 v[2:3], v[2:3], v[56:57]
	ds_write2_b64 v58, v[0:1], v[8:9] offset1:10
	ds_write2_b64 v58, v[2:3], v[4:5] offset0:20 offset1:30
	ds_write2_b64 v58, v[52:53], v[50:51] offset0:40 offset1:50
.LBB0_13:
	s_or_b64 exec, exec, s[2:3]
	v_add_u32_e32 v4, 0xa00, v64
	s_waitcnt lgkmcnt(0)
	s_barrier
	ds_read2_b64 v[4:7], v4 offset0:40 offset1:220
	v_add_u32_e32 v8, 0x1600, v64
	ds_read2_b64 v[8:11], v8 offset0:16 offset1:196
	v_add_u32_e32 v12, 0x2000, v64
	ds_read2_b64 v[12:15], v12 offset0:56 offset1:236
	v_mov_b32_e32 v48, v44
	v_mov_b32_e32 v49, v44
	v_add_u32_e32 v44, 0x2c00, v64
	s_waitcnt lgkmcnt(2)
	v_pk_mul_f32 v[30:31], v[30:31], v[4:5]
	ds_read2_b64 v[0:3], v64 offset1:180
	ds_read2_b64 v[90:93], v44 offset0:32 offset1:212
	v_pk_fma_f32 v[112:113], v[110:111], v[4:5], v[30:31] op_sel:[0,0,1] op_sel_hi:[1,1,0]
	v_pk_fma_f32 v[4:5], v[110:111], v[4:5], v[30:31] op_sel:[0,0,1] op_sel_hi:[1,1,0] neg_lo:[0,0,1] neg_hi:[0,0,1]
	v_pk_mul_f32 v[24:25], v[24:25], v[6:7]
	v_mov_b32_e32 v113, v5
	s_waitcnt lgkmcnt(3)
	v_pk_mul_f32 v[4:5], v[26:27], v[8:9]
	s_waitcnt lgkmcnt(1)
	v_pk_mul_f32 v[28:29], v[28:29], v[2:3]
	v_pk_fma_f32 v[26:27], v[108:109], v[8:9], v[4:5] op_sel:[0,0,1] op_sel_hi:[1,1,0]
	v_pk_fma_f32 v[4:5], v[108:109], v[8:9], v[4:5] op_sel:[0,0,1] op_sel_hi:[1,1,0] neg_lo:[0,0,1] neg_hi:[0,0,1]
	v_pk_mul_f32 v[20:21], v[20:21], v[10:11]
	v_mov_b32_e32 v27, v5
	v_pk_mul_f32 v[4:5], v[22:23], v[12:13]
	v_pk_mul_f32 v[16:17], v[16:17], v[14:15]
	v_pk_fma_f32 v[8:9], v[106:107], v[12:13], v[4:5] op_sel:[0,0,1] op_sel_hi:[1,1,0]
	v_pk_fma_f32 v[4:5], v[106:107], v[12:13], v[4:5] op_sel:[0,0,1] op_sel_hi:[1,1,0] neg_lo:[0,0,1] neg_hi:[0,0,1]
	v_pk_fma_f32 v[106:107], v[102:103], v[2:3], v[28:29] op_sel:[0,0,1] op_sel_hi:[1,1,0]
	v_mov_b32_e32 v9, v5
	s_waitcnt lgkmcnt(0)
	v_pk_mul_f32 v[4:5], v[18:19], v[90:91]
	v_pk_fma_f32 v[2:3], v[102:103], v[2:3], v[28:29] op_sel:[0,0,1] op_sel_hi:[1,1,0] neg_lo:[0,0,1] neg_hi:[0,0,1]
	v_pk_fma_f32 v[12:13], v[104:105], v[90:91], v[4:5] op_sel:[0,0,1] op_sel_hi:[1,1,0]
	v_pk_fma_f32 v[4:5], v[104:105], v[90:91], v[4:5] op_sel:[0,0,1] op_sel_hi:[1,1,0] neg_lo:[0,0,1] neg_hi:[0,0,1]
	v_pk_fma_f32 v[28:29], v[100:101], v[6:7], v[24:25] op_sel:[0,0,1] op_sel_hi:[1,1,0]
	;; [unrolled: 2-line block ×4, first 2 shown]
	v_pk_fma_f32 v[14:15], v[96:97], v[14:15], v[16:17] op_sel:[0,0,1] op_sel_hi:[1,1,0] neg_lo:[0,0,1] neg_hi:[0,0,1]
	v_pk_mul_f32 v[16:17], v[94:95], v[92:93]
	v_mov_b32_e32 v13, v5
	v_pk_add_f32 v[4:5], v[26:27], v[8:9]
	v_pk_fma_f32 v[94:95], v[62:63], v[92:93], v[16:17] op_sel:[0,0,1] op_sel_hi:[1,1,0]
	v_pk_fma_f32 v[4:5], v[4:5], 0.5, v[0:1] op_sel_hi:[1,0,1] neg_lo:[1,0,0] neg_hi:[1,0,0]
	v_pk_add_f32 v[18:19], v[112:113], v[12:13] neg_lo:[0,1] neg_hi:[0,1]
	s_mov_b32 s0, 0x3f737871
	s_mov_b32 s6, 0x3f167918
	v_pk_add_f32 v[30:31], v[112:113], v[26:27] neg_lo:[0,1] neg_hi:[0,1]
	v_pk_add_f32 v[90:91], v[12:13], v[8:9] neg_lo:[0,1] neg_hi:[0,1]
	v_mov_b32_e32 v98, v28
	v_mov_b32_e32 v99, v94
	;; [unrolled: 1-line block ×4, first 2 shown]
	v_pk_add_f32 v[22:23], v[26:27], v[8:9] neg_lo:[0,1] neg_hi:[0,1]
	s_mov_b32 s7, 0x3f4f1bbd
	v_pk_add_f32 v[30:31], v[30:31], v[90:91]
	v_pk_fma_f32 v[90:91], v[18:19], s[0:1], v[4:5] op_sel:[1,0,0] op_sel_hi:[0,0,1]
	v_pk_fma_f32 v[4:5], v[18:19], s[0:1], v[4:5] op_sel:[1,0,0] op_sel_hi:[0,0,1] neg_lo:[1,0,0] neg_hi:[1,0,0]
	v_pk_add_f32 v[102:103], v[98:99], v[100:101] neg_lo:[0,1] neg_hi:[0,1]
	v_pk_fma_f32 v[4:5], v[22:23], s[6:7], v[4:5] op_sel:[1,0,0] op_sel_hi:[0,0,1] neg_lo:[1,0,0] neg_hi:[1,0,0]
	v_pk_fma_f32 v[90:91], v[22:23], s[6:7], v[90:91] op_sel:[1,0,0] op_sel_hi:[0,0,1]
	v_mov_b32_e32 v25, v11
	v_mov_b32_e32 v21, v15
	v_pk_fma_f32 v[16:17], v[62:63], v[92:93], v[16:17] op_sel:[0,0,1] op_sel_hi:[1,1,0] neg_lo:[0,0,1] neg_hi:[0,0,1]
	v_mov_b32_e32 v2, v103
	s_mov_b32 s2, 0x3e9e377a
	v_mov_b32_e32 v104, v90
	v_mov_b32_e32 v105, v5
	;; [unrolled: 1-line block ×4, first 2 shown]
	v_pk_add_f32 v[62:63], v[24:25], v[20:21]
	v_pk_add_f32 v[96:97], v[24:25], v[20:21] neg_lo:[0,1] neg_hi:[0,1]
	v_pk_add_f32 v[102:103], v[102:103], v[2:3]
	v_pk_fma_f32 v[104:105], v[30:31], s[2:3], v[104:105] op_sel_hi:[1,0,1]
	v_fma_f32 v5, -0.5, v62, v106
	v_pk_add_f32 v[92:93], v[28:29], v[94:95] neg_lo:[0,1] neg_hi:[0,1]
	v_mov_b32_e32 v103, v97
	s_mov_b32 s3, s6
	v_fmamk_f32 v6, v93, 0xbf737871, v5
	v_pk_mul_f32 v[102:103], v[102:103], s[2:3]
	v_fmac_f32_e32 v5, 0x3f737871, v93
	v_pk_add_f32 v[98:99], v[100:101], v[98:99] neg_lo:[0,1] neg_hi:[0,1]
	v_sub_f32_e32 v2, v6, v103
	v_add_f32_e32 v5, v103, v5
	v_mov_b32_e32 v10, v99
	v_add_f32_e32 v2, v102, v2
	v_add_f32_e32 v6, v102, v5
	v_pk_add_f32 v[102:103], v[28:29], v[94:95]
	v_mov_b32_e32 v5, v106
	v_pk_add_f32 v[98:99], v[98:99], v[10:11]
	v_mov_b32_e32 v107, v3
	v_fmac_f32_e32 v5, -0.5, v102
	v_mov_b32_e32 v99, v93
	v_fmamk_f32 v14, v97, 0x3f737871, v5
	v_pk_mul_f32 v[98:99], v[98:99], s[2:3]
	v_fmac_f32_e32 v5, 0xbf737871, v97
	v_pk_add_f32 v[28:29], v[106:107], v[28:29]
	v_sub_f32_e32 v10, v14, v99
	v_add_f32_e32 v5, v99, v5
	v_pk_add_f32 v[24:25], v[28:29], v[24:25]
	v_mov_b32_e32 v16, v7
	v_mov_b32_e32 v14, v11
	v_add_f32_e32 v44, v98, v5
	v_pk_add_f32 v[20:21], v[24:25], v[20:21]
	v_fma_f32 v5, -0.5, v63, v3
	v_pk_add_f32 v[24:25], v[16:17], v[14:15] neg_lo:[0,1] neg_hi:[0,1]
	v_fmamk_f32 v29, v92, 0x3f737871, v5
	v_mov_b32_e32 v28, v25
	v_pk_add_f32 v[24:25], v[24:25], v[28:29]
	v_pk_add_f32 v[14:15], v[14:15], v[16:17] neg_lo:[0,1] neg_hi:[0,1]
	v_mov_b32_e32 v25, v96
	v_mov_b32_e32 v16, v15
	v_pk_mul_f32 v[24:25], v[24:25], s[2:3]
	v_fmac_f32_e32 v5, 0xbf737871, v92
	v_pk_add_f32 v[14:15], v[14:15], v[16:17]
	v_pk_add_f32 v[16:17], v[0:1], v[112:113]
	v_add_f32_e32 v7, v25, v29
	v_sub_f32_e32 v5, v5, v25
	v_fmac_f32_e32 v3, -0.5, v103
	v_mov_b32_e32 v15, v92
	v_pk_add_f32 v[16:17], v[16:17], v[26:27]
	v_add_f32_e32 v28, v24, v7
	v_add_f32_e32 v24, v24, v5
	v_fmamk_f32 v5, v96, 0xbf737871, v3
	v_pk_mul_f32 v[14:15], v[14:15], s[2:3]
	v_pk_add_f32 v[16:17], v[16:17], v[8:9]
	v_add_f32_e32 v5, v15, v5
	v_fmac_f32_e32 v3, 0x3f737871, v96
	v_pk_add_f32 v[92:93], v[16:17], v[12:13]
	s_mov_b32 s12, 0xbf4f1bbd
	s_mov_b32 s13, s6
	v_pk_mul_f32 v[16:17], v[24:25], s[6:7] op_sel_hi:[0,1]
	v_add_f32_e32 v62, v14, v5
	v_sub_f32_e32 v3, v3, v15
	v_pk_fma_f32 v[6:7], v[6:7], s[12:13], v[16:17] op_sel_hi:[0,1,1] neg_lo:[0,0,1] neg_hi:[0,0,1]
	v_mov_b32_e32 v5, v91
	s_mov_b32 s12, s7
	v_pk_mul_f32 v[28:29], v[28:29], s[6:7] op_sel_hi:[0,1]
	v_add_f32_e32 v14, v14, v3
	v_pk_fma_f32 v[4:5], v[30:31], s[2:3], v[4:5] op_sel_hi:[1,0,1]
	v_pk_fma_f32 v[30:31], v[2:3], s[12:13], v[28:29] neg_lo:[0,0,1] neg_hi:[0,0,1]
	v_pk_fma_f32 v[2:3], v[2:3], s[12:13], v[28:29] op_sel_hi:[0,1,1]
	v_pk_add_f32 v[20:21], v[20:21], v[94:95]
	v_mov_b32_e32 v31, v3
	v_pk_add_f32 v[24:25], v[92:93], v[20:21]
	v_pk_add_f32 v[2:3], v[4:5], v[30:31]
	s_barrier
	ds_write2_b64 v132, v[24:25], v[2:3] offset1:60
	v_pk_add_f32 v[2:3], v[112:113], v[12:13]
	v_pk_add_f32 v[8:9], v[8:9], v[12:13] neg_lo:[0,1] neg_hi:[0,1]
	v_pk_fma_f32 v[0:1], v[2:3], 0.5, v[0:1] op_sel_hi:[1,0,1] neg_lo:[1,0,0] neg_hi:[1,0,0]
	v_pk_add_f32 v[2:3], v[26:27], v[112:113] neg_lo:[0,1] neg_hi:[0,1]
	v_add_f32_e32 v10, v98, v10
	v_pk_add_f32 v[2:3], v[2:3], v[8:9]
	v_pk_fma_f32 v[8:9], v[22:23], s[0:1], v[0:1] op_sel:[1,0,0] op_sel_hi:[0,0,1]
	v_pk_fma_f32 v[0:1], v[22:23], s[0:1], v[0:1] op_sel:[1,0,0] op_sel_hi:[0,0,1] neg_lo:[1,0,0] neg_hi:[1,0,0]
	v_pk_fma_f32 v[0:1], v[18:19], s[6:7], v[0:1] op_sel:[1,0,0] op_sel_hi:[0,0,1]
	v_pk_fma_f32 v[8:9], v[18:19], s[6:7], v[8:9] op_sel:[1,0,0] op_sel_hi:[0,0,1] neg_lo:[1,0,0] neg_hi:[1,0,0]
	v_mov_b32_e32 v12, v8
	v_mov_b32_e32 v13, v1
	s_mov_b32 s1, s2
	v_pk_fma_f32 v[12:13], v[2:3], s[2:3], v[12:13] op_sel_hi:[1,0,1]
	s_mov_b32 s3, s0
	v_pk_mul_f32 v[18:19], v[62:63], s[0:1] op_sel_hi:[0,1]
	v_pk_fma_f32 v[22:23], v[10:11], s[2:3], v[18:19] neg_lo:[0,0,1] neg_hi:[0,0,1]
	v_pk_fma_f32 v[10:11], v[10:11], s[2:3], v[18:19] op_sel_hi:[0,1,1]
	s_mov_b32 s6, 0xbe9e377a
	s_mov_b32 s7, s0
	v_pk_mul_f32 v[14:15], v[14:15], s[0:1] op_sel_hi:[0,1]
	v_mov_b32_e32 v1, v9
	v_mov_b32_e32 v23, v11
	v_pk_fma_f32 v[14:15], v[44:45], s[6:7], v[14:15] op_sel_hi:[0,1,1] neg_lo:[0,0,1] neg_hi:[0,0,1]
	v_pk_fma_f32 v[0:1], v[2:3], s[2:3], v[0:1] op_sel_hi:[1,0,1]
	v_pk_add_f32 v[10:11], v[12:13], v[22:23]
	v_pk_add_f32 v[2:3], v[0:1], v[14:15]
	v_pk_add_f32 v[16:17], v[104:105], v[6:7] neg_lo:[0,1] neg_hi:[0,1]
	ds_write2_b64 v132, v[10:11], v[2:3] offset0:120 offset1:180
	v_pk_add_f32 v[2:3], v[104:105], v[6:7]
	v_pk_add_f32 v[6:7], v[92:93], v[20:21] neg_lo:[0,1] neg_hi:[0,1]
	v_add_u32_e32 v8, 0x400, v132
	ds_write2_b64 v8, v[2:3], v[6:7] offset0:112 offset1:172
	v_pk_add_f32 v[2:3], v[4:5], v[30:31] neg_lo:[0,1] neg_hi:[0,1]
	v_pk_add_f32 v[4:5], v[12:13], v[22:23] neg_lo:[0,1] neg_hi:[0,1]
	v_add_u32_e32 v6, 0x800, v132
	ds_write2_b64 v6, v[2:3], v[4:5] offset0:104 offset1:164
	v_pk_add_f32 v[0:1], v[0:1], v[14:15] neg_lo:[0,1] neg_hi:[0,1]
	v_add_u32_e32 v2, 0xc00, v132
	ds_write2_b64 v2, v[0:1], v[16:17] offset0:96 offset1:156
	v_add_u32_e32 v0, 0xb00, v64
	v_add_u32_e32 v4, 0x2400, v64
	;; [unrolled: 1-line block ×3, first 2 shown]
	s_waitcnt lgkmcnt(0)
	s_barrier
	ds_read2_b64 v[8:11], v64 offset1:180
	ds_read2_b64 v[0:3], v0 offset0:8 offset1:248
	ds_read2_b64 v[12:15], v4 offset0:48 offset1:228
	;; [unrolled: 1-line block ×3, first 2 shown]
	ds_read_b64 v[18:19], v64 offset:12480
	v_mov_b32_e32 v60, v36
	v_mov_b32_e32 v61, v36
	;; [unrolled: 1-line block ×16, first 2 shown]
	s_and_saveexec_b64 s[0:1], s[4:5]
	s_cbranch_execz .LBB0_15
; %bb.14:
	ds_read_b64 v[16:17], v64 offset:4320
	ds_read_b64 v[52:53], v64 offset:9120
	;; [unrolled: 1-line block ×3, first 2 shown]
.LBB0_15:
	s_or_b64 exec, exec, s[0:1]
	s_waitcnt lgkmcnt(3)
	v_pk_mul_f32 v[24:25], v[36:37], v[2:3]
	s_waitcnt lgkmcnt(2)
	v_pk_mul_f32 v[26:27], v[38:39], v[12:13]
	;; [unrolled: 2-line block ×3, first 2 shown]
	v_pk_fma_f32 v[40:41], v[60:61], v[2:3], v[24:25] op_sel:[0,0,1] op_sel_hi:[1,1,0]
	v_pk_fma_f32 v[2:3], v[60:61], v[2:3], v[24:25] op_sel:[0,0,1] op_sel_hi:[1,1,0] neg_lo:[0,0,1] neg_hi:[0,0,1]
	s_mov_b32 s0, 0x3f5db3d7
	v_mov_b32_e32 v41, v3
	v_pk_fma_f32 v[2:3], v[58:59], v[12:13], v[26:27] op_sel:[0,0,1] op_sel_hi:[1,1,0]
	v_pk_fma_f32 v[12:13], v[58:59], v[12:13], v[26:27] op_sel:[0,0,1] op_sel_hi:[1,1,0] neg_lo:[0,0,1] neg_hi:[0,0,1]
	v_pk_mul_f32 v[30:31], v[42:43], v[14:15]
	v_mov_b32_e32 v3, v13
	v_pk_add_f32 v[12:13], v[8:9], v[40:41]
	v_pk_add_f32 v[24:25], v[40:41], v[2:3]
	;; [unrolled: 1-line block ×3, first 2 shown]
	v_pk_add_f32 v[2:3], v[40:41], v[2:3] neg_lo:[0,1] neg_hi:[0,1]
	v_pk_fma_f32 v[8:9], v[24:25], 0.5, v[8:9] op_sel_hi:[1,0,1] neg_lo:[1,0,0] neg_hi:[1,0,0]
	v_pk_mul_f32 v[2:3], v[2:3], s[0:1] op_sel_hi:[1,0]
	v_pk_mul_f32 v[36:37], v[44:45], v[6:7]
	v_pk_add_f32 v[24:25], v[8:9], v[2:3] op_sel:[0,1] op_sel_hi:[1,0] neg_lo:[0,1] neg_hi:[0,1]
	v_pk_add_f32 v[2:3], v[8:9], v[2:3] op_sel:[0,1] op_sel_hi:[1,0]
	v_mov_b32_e32 v8, v24
	v_mov_b32_e32 v9, v3
	;; [unrolled: 1-line block ×3, first 2 shown]
	ds_write_b64 v64, v[2:3] offset:9600
	v_pk_fma_f32 v[2:3], v[56:57], v[4:5], v[28:29] op_sel:[0,0,1] op_sel_hi:[1,1,0]
	v_pk_fma_f32 v[4:5], v[56:57], v[4:5], v[28:29] op_sel:[0,0,1] op_sel_hi:[1,1,0] neg_lo:[0,0,1] neg_hi:[0,0,1]
	ds_write_b64 v64, v[8:9] offset:4800
	v_mov_b32_e32 v3, v5
	v_pk_fma_f32 v[4:5], v[54:55], v[14:15], v[30:31] op_sel:[0,0,1] op_sel_hi:[1,1,0]
	v_pk_fma_f32 v[8:9], v[54:55], v[14:15], v[30:31] op_sel:[0,0,1] op_sel_hi:[1,1,0] neg_lo:[0,0,1] neg_hi:[0,0,1]
	s_waitcnt lgkmcnt(2)
	v_pk_mul_f32 v[38:39], v[46:47], v[18:19]
	v_mov_b32_e32 v5, v9
	v_pk_add_f32 v[8:9], v[10:11], v[2:3]
	s_nop 0
	v_pk_add_f32 v[8:9], v[8:9], v[4:5]
	ds_write2_b64 v64, v[12:13], v[8:9] offset1:180
	v_pk_add_f32 v[8:9], v[2:3], v[4:5]
	v_pk_add_f32 v[2:3], v[2:3], v[4:5] neg_lo:[0,1] neg_hi:[0,1]
	v_pk_fma_f32 v[8:9], v[8:9], 0.5, v[10:11] op_sel_hi:[1,0,1] neg_lo:[1,0,0] neg_hi:[1,0,0]
	v_pk_mul_f32 v[2:3], v[2:3], s[0:1] op_sel_hi:[1,0]
	s_nop 0
	v_pk_add_f32 v[4:5], v[8:9], v[2:3] op_sel:[0,1] op_sel_hi:[1,0] neg_lo:[0,1] neg_hi:[0,1]
	v_pk_add_f32 v[2:3], v[8:9], v[2:3] op_sel:[0,1] op_sel_hi:[1,0]
	v_mov_b32_e32 v8, v4
	v_mov_b32_e32 v9, v3
	;; [unrolled: 1-line block ×3, first 2 shown]
	ds_write_b64 v64, v[2:3] offset:11040
	v_pk_fma_f32 v[2:3], v[48:49], v[6:7], v[36:37] op_sel:[0,0,1] op_sel_hi:[1,1,0]
	v_pk_fma_f32 v[4:5], v[48:49], v[6:7], v[36:37] op_sel:[0,0,1] op_sel_hi:[1,1,0] neg_lo:[0,0,1] neg_hi:[0,0,1]
	v_pk_fma_f32 v[6:7], v[20:21], v[18:19], v[38:39] op_sel:[0,0,1] op_sel_hi:[1,1,0] neg_lo:[0,0,1] neg_hi:[0,0,1]
	v_mov_b32_e32 v3, v5
	v_pk_fma_f32 v[4:5], v[20:21], v[18:19], v[38:39] op_sel:[0,0,1] op_sel_hi:[1,1,0]
	s_nop 0
	v_mov_b32_e32 v5, v7
	v_pk_add_f32 v[6:7], v[0:1], v[2:3]
	s_nop 0
	v_pk_add_f32 v[6:7], v[6:7], v[4:5]
	ds_write_b64 v64, v[6:7] offset:2880
	v_pk_add_f32 v[6:7], v[2:3], v[4:5]
	v_pk_add_f32 v[2:3], v[2:3], v[4:5] neg_lo:[0,1] neg_hi:[0,1]
	v_pk_fma_f32 v[0:1], v[6:7], 0.5, v[0:1] op_sel_hi:[1,0,1] neg_lo:[1,0,0] neg_hi:[1,0,0]
	v_pk_mul_f32 v[2:3], v[2:3], s[0:1] op_sel_hi:[1,0]
	s_nop 0
	v_pk_add_f32 v[4:5], v[0:1], v[2:3] op_sel:[0,1] op_sel_hi:[1,0] neg_lo:[0,1] neg_hi:[0,1]
	v_pk_add_f32 v[0:1], v[0:1], v[2:3] op_sel:[0,1] op_sel_hi:[1,0]
	v_mov_b32_e32 v2, v4
	v_mov_b32_e32 v3, v1
	;; [unrolled: 1-line block ×3, first 2 shown]
	ds_write2_b64 v22, v[8:9], v[2:3] offset0:12 offset1:192
	ds_write_b64 v64, v[0:1] offset:12480
	s_and_saveexec_b64 s[2:3], s[4:5]
	s_cbranch_execz .LBB0_17
; %bb.16:
	v_pk_mul_f32 v[0:1], v[32:33], v[52:53] op_sel:[0,1]
	v_pk_mul_f32 v[2:3], v[34:35], v[50:51] op_sel:[0,1]
	v_pk_fma_f32 v[4:5], v[32:33], v[52:53], v[0:1] op_sel:[0,0,1] op_sel_hi:[1,1,0]
	v_pk_fma_f32 v[0:1], v[32:33], v[52:53], v[0:1] op_sel:[0,0,1] op_sel_hi:[1,0,0] neg_lo:[1,0,0] neg_hi:[1,0,0]
	s_nop 0
	v_mov_b32_e32 v5, v1
	v_pk_fma_f32 v[0:1], v[34:35], v[50:51], v[2:3] op_sel:[0,0,1] op_sel_hi:[1,1,0]
	v_pk_fma_f32 v[2:3], v[34:35], v[50:51], v[2:3] op_sel:[0,0,1] op_sel_hi:[1,0,0] neg_lo:[1,0,0] neg_hi:[1,0,0]
	s_nop 0
	v_mov_b32_e32 v1, v3
	v_pk_add_f32 v[2:3], v[16:17], v[4:5]
	s_nop 0
	v_pk_add_f32 v[2:3], v[2:3], v[0:1]
	ds_write_b64 v64, v[2:3] offset:4320
	v_pk_add_f32 v[2:3], v[4:5], v[0:1]
	v_pk_add_f32 v[0:1], v[4:5], v[0:1] neg_lo:[0,1] neg_hi:[0,1]
	v_pk_fma_f32 v[2:3], -0.5, v[2:3], v[16:17] op_sel_hi:[0,1,1]
	v_pk_mul_f32 v[0:1], v[0:1], s[0:1] op_sel_hi:[1,0]
	s_nop 0
	v_pk_add_f32 v[4:5], v[2:3], v[0:1] op_sel:[0,1] op_sel_hi:[1,0] neg_lo:[0,1] neg_hi:[0,1]
	v_pk_add_f32 v[0:1], v[2:3], v[0:1] op_sel:[0,1] op_sel_hi:[1,0]
	v_mov_b32_e32 v2, v4
	v_mov_b32_e32 v3, v1
	;; [unrolled: 1-line block ×3, first 2 shown]
	ds_write_b64 v64, v[2:3] offset:9120
	ds_write_b64 v64, v[0:1] offset:13920
.LBB0_17:
	s_or_b64 exec, exec, s[2:3]
	s_waitcnt lgkmcnt(0)
	s_barrier
	ds_read2_b64 v[0:3], v64 offset1:180
	v_mad_u64_u32 v[6:7], s[0:1], s10, v74, 0
	v_mov_b32_e32 v8, v7
	v_mad_u64_u32 v[8:9], s[0:1], s11, v74, v[8:9]
	v_mov_b32_e32 v7, v8
	s_waitcnt lgkmcnt(0)
	v_mul_f32_e32 v8, v89, v1
	v_fmac_f32_e32 v8, v88, v0
	v_mul_f32_e32 v0, v89, v0
	s_mov_b32 s0, 0x789abcdf
	v_fma_f32 v0, v88, v1, -v0
	v_cvt_f64_f32_e32 v[8:9], v8
	s_mov_b32 s1, 0x3f423456
	v_cvt_f64_f32_e32 v[0:1], v0
	v_mul_f64 v[8:9], v[8:9], s[0:1]
	v_mul_f64 v[0:1], v[0:1], s[0:1]
	v_cvt_f32_f64_e32 v8, v[8:9]
	v_cvt_f32_f64_e32 v9, v[0:1]
	v_mad_u64_u32 v[0:1], s[2:3], s8, v66, 0
	v_mov_b32_e32 v10, v1
	v_mov_b32_e32 v4, s16
	;; [unrolled: 1-line block ×3, first 2 shown]
	v_mad_u64_u32 v[10:11], s[2:3], s9, v66, v[10:11]
	v_mov_b32_e32 v1, v10
	v_lshl_add_u64 v[4:5], v[6:7], 3, v[4:5]
	v_lshl_add_u64 v[4:5], v[0:1], 3, v[4:5]
	v_mul_f32_e32 v0, v87, v3
	v_fmac_f32_e32 v0, v86, v2
	v_cvt_f64_f32_e32 v[0:1], v0
	v_mul_f64 v[0:1], v[0:1], s[0:1]
	v_cvt_f32_f64_e32 v6, v[0:1]
	v_mul_f32_e32 v0, v87, v2
	v_fma_f32 v0, v86, v3, -v0
	v_cvt_f64_f32_e32 v[0:1], v0
	v_mul_f64 v[0:1], v[0:1], s[0:1]
	v_cvt_f32_f64_e32 v7, v[0:1]
	v_add_u32_e32 v0, 0xa00, v64
	ds_read2_b64 v[0:3], v0 offset0:40 offset1:220
	global_store_dwordx2 v[4:5], v[8:9], off
	v_mov_b32_e32 v8, 0x5a0
	v_mad_u64_u32 v[4:5], s[2:3], s8, v8, v[4:5]
	s_mul_i32 s4, s9, 0x5a0
	v_add_u32_e32 v5, s4, v5
	global_store_dwordx2 v[4:5], v[6:7], off
	s_waitcnt lgkmcnt(0)
	v_mul_f32_e32 v6, v81, v1
	v_fmac_f32_e32 v6, v80, v0
	v_mul_f32_e32 v0, v81, v0
	v_fma_f32 v0, v80, v1, -v0
	v_cvt_f64_f32_e32 v[6:7], v6
	v_cvt_f64_f32_e32 v[0:1], v0
	v_mul_f64 v[6:7], v[6:7], s[0:1]
	v_mul_f64 v[0:1], v[0:1], s[0:1]
	v_cvt_f32_f64_e32 v6, v[6:7]
	v_cvt_f32_f64_e32 v7, v[0:1]
	v_mul_f32_e32 v0, v85, v3
	v_fmac_f32_e32 v0, v84, v2
	v_mad_u64_u32 v[4:5], s[2:3], s8, v8, v[4:5]
	v_cvt_f64_f32_e32 v[0:1], v0
	v_add_u32_e32 v5, s4, v5
	v_mul_f64 v[0:1], v[0:1], s[0:1]
	global_store_dwordx2 v[4:5], v[6:7], off
	v_cvt_f32_f64_e32 v6, v[0:1]
	v_mul_f32_e32 v0, v85, v2
	v_fma_f32 v0, v84, v3, -v0
	v_cvt_f64_f32_e32 v[0:1], v0
	v_mul_f64 v[0:1], v[0:1], s[0:1]
	v_cvt_f32_f64_e32 v7, v[0:1]
	v_add_u32_e32 v0, 0x1600, v64
	ds_read2_b64 v[0:3], v0 offset0:16 offset1:196
	v_mad_u64_u32 v[4:5], s[2:3], s8, v8, v[4:5]
	v_add_u32_e32 v5, s4, v5
	global_store_dwordx2 v[4:5], v[6:7], off
	s_waitcnt lgkmcnt(0)
	v_mul_f32_e32 v6, v77, v1
	v_fmac_f32_e32 v6, v76, v0
	v_mul_f32_e32 v0, v77, v0
	v_fma_f32 v0, v76, v1, -v0
	v_cvt_f64_f32_e32 v[6:7], v6
	v_cvt_f64_f32_e32 v[0:1], v0
	v_mul_f64 v[6:7], v[6:7], s[0:1]
	v_mul_f64 v[0:1], v[0:1], s[0:1]
	v_cvt_f32_f64_e32 v6, v[6:7]
	v_cvt_f32_f64_e32 v7, v[0:1]
	v_mul_f32_e32 v0, v83, v3
	v_fmac_f32_e32 v0, v82, v2
	v_mad_u64_u32 v[4:5], s[2:3], s8, v8, v[4:5]
	v_cvt_f64_f32_e32 v[0:1], v0
	v_add_u32_e32 v5, s4, v5
	v_mul_f64 v[0:1], v[0:1], s[0:1]
	global_store_dwordx2 v[4:5], v[6:7], off
	v_cvt_f32_f64_e32 v6, v[0:1]
	v_mul_f32_e32 v0, v83, v2
	v_fma_f32 v0, v82, v3, -v0
	v_cvt_f64_f32_e32 v[0:1], v0
	v_mul_f64 v[0:1], v[0:1], s[0:1]
	v_cvt_f32_f64_e32 v7, v[0:1]
	v_add_u32_e32 v0, 0x2000, v64
	ds_read2_b64 v[0:3], v0 offset0:56 offset1:236
	v_mad_u64_u32 v[4:5], s[2:3], s8, v8, v[4:5]
	;; [unrolled: 29-line block ×3, first 2 shown]
	v_add_u32_e32 v5, s4, v5
	global_store_dwordx2 v[4:5], v[6:7], off
	s_waitcnt lgkmcnt(0)
	v_mul_f32_e32 v6, v69, v1
	v_fmac_f32_e32 v6, v68, v0
	v_mul_f32_e32 v0, v69, v0
	v_fma_f32 v0, v68, v1, -v0
	v_cvt_f64_f32_e32 v[6:7], v6
	v_cvt_f64_f32_e32 v[0:1], v0
	v_mul_f64 v[6:7], v[6:7], s[0:1]
	v_mul_f64 v[0:1], v[0:1], s[0:1]
	v_cvt_f32_f64_e32 v6, v[6:7]
	v_cvt_f32_f64_e32 v7, v[0:1]
	v_mad_u64_u32 v[0:1], s[2:3], s8, v8, v[4:5]
	v_mul_f32_e32 v4, v71, v3
	v_fmac_f32_e32 v4, v70, v2
	v_mul_f32_e32 v2, v71, v2
	v_fma_f32 v2, v70, v3, -v2
	v_add_u32_e32 v1, s4, v1
	v_cvt_f64_f32_e32 v[4:5], v4
	v_cvt_f64_f32_e32 v[2:3], v2
	global_store_dwordx2 v[0:1], v[6:7], off
	v_mul_f64 v[4:5], v[4:5], s[0:1]
	v_mul_f64 v[2:3], v[2:3], s[0:1]
	v_mad_u64_u32 v[0:1], s[0:1], s8, v8, v[0:1]
	v_cvt_f32_f64_e32 v4, v[4:5]
	v_cvt_f32_f64_e32 v5, v[2:3]
	v_add_u32_e32 v1, s4, v1
	global_store_dwordx2 v[0:1], v[4:5], off
.LBB0_18:
	s_endpgm
	.section	.rodata,"a",@progbits
	.p2align	6, 0x0
	.amdhsa_kernel bluestein_single_back_len1800_dim1_sp_op_CI_CI
		.amdhsa_group_segment_fixed_size 14400
		.amdhsa_private_segment_fixed_size 0
		.amdhsa_kernarg_size 104
		.amdhsa_user_sgpr_count 2
		.amdhsa_user_sgpr_dispatch_ptr 0
		.amdhsa_user_sgpr_queue_ptr 0
		.amdhsa_user_sgpr_kernarg_segment_ptr 1
		.amdhsa_user_sgpr_dispatch_id 0
		.amdhsa_user_sgpr_kernarg_preload_length 0
		.amdhsa_user_sgpr_kernarg_preload_offset 0
		.amdhsa_user_sgpr_private_segment_size 0
		.amdhsa_uses_dynamic_stack 0
		.amdhsa_enable_private_segment 0
		.amdhsa_system_sgpr_workgroup_id_x 1
		.amdhsa_system_sgpr_workgroup_id_y 0
		.amdhsa_system_sgpr_workgroup_id_z 0
		.amdhsa_system_sgpr_workgroup_info 0
		.amdhsa_system_vgpr_workitem_id 0
		.amdhsa_next_free_vgpr 146
		.amdhsa_next_free_sgpr 22
		.amdhsa_accum_offset 148
		.amdhsa_reserve_vcc 1
		.amdhsa_float_round_mode_32 0
		.amdhsa_float_round_mode_16_64 0
		.amdhsa_float_denorm_mode_32 3
		.amdhsa_float_denorm_mode_16_64 3
		.amdhsa_dx10_clamp 1
		.amdhsa_ieee_mode 1
		.amdhsa_fp16_overflow 0
		.amdhsa_tg_split 0
		.amdhsa_exception_fp_ieee_invalid_op 0
		.amdhsa_exception_fp_denorm_src 0
		.amdhsa_exception_fp_ieee_div_zero 0
		.amdhsa_exception_fp_ieee_overflow 0
		.amdhsa_exception_fp_ieee_underflow 0
		.amdhsa_exception_fp_ieee_inexact 0
		.amdhsa_exception_int_div_zero 0
	.end_amdhsa_kernel
	.text
.Lfunc_end0:
	.size	bluestein_single_back_len1800_dim1_sp_op_CI_CI, .Lfunc_end0-bluestein_single_back_len1800_dim1_sp_op_CI_CI
                                        ; -- End function
	.section	.AMDGPU.csdata,"",@progbits
; Kernel info:
; codeLenInByte = 11124
; NumSgprs: 28
; NumVgprs: 146
; NumAgprs: 0
; TotalNumVgprs: 146
; ScratchSize: 0
; MemoryBound: 0
; FloatMode: 240
; IeeeMode: 1
; LDSByteSize: 14400 bytes/workgroup (compile time only)
; SGPRBlocks: 3
; VGPRBlocks: 18
; NumSGPRsForWavesPerEU: 28
; NumVGPRsForWavesPerEU: 146
; AccumOffset: 148
; Occupancy: 3
; WaveLimiterHint : 1
; COMPUTE_PGM_RSRC2:SCRATCH_EN: 0
; COMPUTE_PGM_RSRC2:USER_SGPR: 2
; COMPUTE_PGM_RSRC2:TRAP_HANDLER: 0
; COMPUTE_PGM_RSRC2:TGID_X_EN: 1
; COMPUTE_PGM_RSRC2:TGID_Y_EN: 0
; COMPUTE_PGM_RSRC2:TGID_Z_EN: 0
; COMPUTE_PGM_RSRC2:TIDIG_COMP_CNT: 0
; COMPUTE_PGM_RSRC3_GFX90A:ACCUM_OFFSET: 36
; COMPUTE_PGM_RSRC3_GFX90A:TG_SPLIT: 0
	.text
	.p2alignl 6, 3212836864
	.fill 256, 4, 3212836864
	.type	__hip_cuid_458fdd7f2213ff86,@object ; @__hip_cuid_458fdd7f2213ff86
	.section	.bss,"aw",@nobits
	.globl	__hip_cuid_458fdd7f2213ff86
__hip_cuid_458fdd7f2213ff86:
	.byte	0                               ; 0x0
	.size	__hip_cuid_458fdd7f2213ff86, 1

	.ident	"AMD clang version 19.0.0git (https://github.com/RadeonOpenCompute/llvm-project roc-6.4.0 25133 c7fe45cf4b819c5991fe208aaa96edf142730f1d)"
	.section	".note.GNU-stack","",@progbits
	.addrsig
	.addrsig_sym __hip_cuid_458fdd7f2213ff86
	.amdgpu_metadata
---
amdhsa.kernels:
  - .agpr_count:     0
    .args:
      - .actual_access:  read_only
        .address_space:  global
        .offset:         0
        .size:           8
        .value_kind:     global_buffer
      - .actual_access:  read_only
        .address_space:  global
        .offset:         8
        .size:           8
        .value_kind:     global_buffer
      - .actual_access:  read_only
        .address_space:  global
        .offset:         16
        .size:           8
        .value_kind:     global_buffer
      - .actual_access:  read_only
        .address_space:  global
        .offset:         24
        .size:           8
        .value_kind:     global_buffer
      - .actual_access:  read_only
        .address_space:  global
        .offset:         32
        .size:           8
        .value_kind:     global_buffer
      - .offset:         40
        .size:           8
        .value_kind:     by_value
      - .address_space:  global
        .offset:         48
        .size:           8
        .value_kind:     global_buffer
      - .address_space:  global
        .offset:         56
        .size:           8
        .value_kind:     global_buffer
      - .address_space:  global
        .offset:         64
        .size:           8
        .value_kind:     global_buffer
      - .address_space:  global
        .offset:         72
        .size:           8
        .value_kind:     global_buffer
      - .offset:         80
        .size:           4
        .value_kind:     by_value
      - .address_space:  global
        .offset:         88
        .size:           8
        .value_kind:     global_buffer
      - .address_space:  global
        .offset:         96
        .size:           8
        .value_kind:     global_buffer
    .group_segment_fixed_size: 14400
    .kernarg_segment_align: 8
    .kernarg_segment_size: 104
    .language:       OpenCL C
    .language_version:
      - 2
      - 0
    .max_flat_workgroup_size: 180
    .name:           bluestein_single_back_len1800_dim1_sp_op_CI_CI
    .private_segment_fixed_size: 0
    .sgpr_count:     28
    .sgpr_spill_count: 0
    .symbol:         bluestein_single_back_len1800_dim1_sp_op_CI_CI.kd
    .uniform_work_group_size: 1
    .uses_dynamic_stack: false
    .vgpr_count:     146
    .vgpr_spill_count: 0
    .wavefront_size: 64
amdhsa.target:   amdgcn-amd-amdhsa--gfx950
amdhsa.version:
  - 1
  - 2
...

	.end_amdgpu_metadata
